;; amdgpu-corpus repo=zjin-lcf/HeCBench kind=compiled arch=gfx90a opt=O3
	.text
	.amdgcn_target "amdgcn-amd-amdhsa--gfx90a"
	.amdhsa_code_object_version 6
	.section	.text._Z34scaled_masked_softmax_warp_forwardI6__halfS0_fLi0EEvPT0_PKT_PKhT1_iii,"axG",@progbits,_Z34scaled_masked_softmax_warp_forwardI6__halfS0_fLi0EEvPT0_PKT_PKhT1_iii,comdat
	.protected	_Z34scaled_masked_softmax_warp_forwardI6__halfS0_fLi0EEvPT0_PKT_PKhT1_iii ; -- Begin function _Z34scaled_masked_softmax_warp_forwardI6__halfS0_fLi0EEvPT0_PKT_PKhT1_iii
	.globl	_Z34scaled_masked_softmax_warp_forwardI6__halfS0_fLi0EEvPT0_PKT_PKhT1_iii
	.p2align	8
	.type	_Z34scaled_masked_softmax_warp_forwardI6__halfS0_fLi0EEvPT0_PKT_PKhT1_iii,@function
_Z34scaled_masked_softmax_warp_forwardI6__halfS0_fLi0EEvPT0_PKT_PKhT1_iii: ; @_Z34scaled_masked_softmax_warp_forwardI6__halfS0_fLi0EEvPT0_PKT_PKhT1_iii
; %bb.0:
	s_load_dword s0, s[6:7], 0x34
	s_load_dwordx4 s[12:15], s[6:7], 0x18
	s_load_dwordx2 s[2:3], s[6:7], 0x28
	s_mov_b32 s11, s8
	s_waitcnt lgkmcnt(0)
	s_lshr_b32 s20, s0, 16
	s_cmp_eq_u32 s15, 1
	s_cbranch_scc1 .LBB0_2
; %bb.1:
	s_mul_i32 s0, s2, s10
	s_add_i32 s11, s0, s8
.LBB0_2:
	s_load_dwordx2 s[22:23], s[4:5], 0x4
	s_load_dwordx4 s[16:19], s[6:7], 0x0
	s_load_dwordx2 s[0:1], s[6:7], 0x10
	s_mul_i32 s3, s3, s10
	s_add_i32 s3, s3, s9
	s_waitcnt lgkmcnt(0)
	s_lshr_b32 s4, s22, 16
	v_and_b32_e32 v8, 0x3ff, v0
	s_mul_i32 s4, s4, s23
	s_mul_i32 s2, s2, s3
	v_bfe_u32 v1, v0, 10, 10
	v_mul_lo_u32 v2, s4, v8
	s_and_b32 s6, 0xffff, s20
	s_add_i32 s2, s2, s8
	v_mad_u32_u24 v2, v1, s23, v2
	v_bfe_u32 v0, v0, 20, 10
	s_mul_i32 s2, s2, s6
	v_add_lshl_u32 v6, v2, v0, 3
	v_add_u32_e32 v0, s2, v1
	v_lshlrev_b32_e32 v2, 1, v0
	v_sub_u32_e32 v2, s13, v2
	v_min_i32_e32 v3, 2, v2
	v_mul_lo_u32 v0, s14, v0
	v_cmp_lt_i32_e32 vcc, 0, v2
	v_max_i32_e32 v7, 1, v3
	v_lshl_add_u32 v0, v0, 1, v8
                                        ; implicit-def: $vgpr5
	s_and_saveexec_b64 s[4:5], vcc
	s_cbranch_execz .LBB0_10
; %bb.3:
	s_mul_i32 s2, s11, s6
	v_add_u32_e32 v1, s2, v1
	v_mul_lo_u32 v1, s14, v1
	v_lshl_add_u32 v1, v1, 1, v8
	v_ashrrev_i32_e32 v3, 31, v1
	v_mov_b32_e32 v4, s1
	v_add_co_u32_e64 v2, s[0:1], s0, v1
	v_ashrrev_i32_e32 v1, 31, v0
	v_addc_co_u32_e64 v3, s[0:1], v4, v3, s[0:1]
	v_lshlrev_b64 v[4:5], 1, v[0:1]
	s_ashr_i32 s15, s14, 31
	v_mov_b32_e32 v1, s19
	v_add_co_u32_e64 v4, s[2:3], s18, v4
	s_lshl_b64 s[8:9], s[14:15], 1
	v_cmp_gt_i32_e64 s[0:1], s14, v8
	v_addc_co_u32_e64 v5, s[2:3], v1, v5, s[2:3]
	s_mov_b64 s[6:7], 0
	v_mov_b32_e32 v1, s9
	v_mov_b32_e32 v9, s15
	;; [unrolled: 1-line block ×4, first 2 shown]
	s_branch .LBB0_6
.LBB0_4:                                ;   in Loop: Header=BB0_6 Depth=1
	s_or_b64 exec, exec, s[18:19]
.LBB0_5:                                ;   in Loop: Header=BB0_6 Depth=1
	s_or_b64 exec, exec, s[10:11]
	v_add_co_u32_e64 v4, s[2:3], s8, v4
	v_add_u32_e32 v10, -1, v10
	v_addc_co_u32_e64 v5, s[2:3], v5, v1, s[2:3]
	v_cmp_eq_u32_e64 s[2:3], 0, v10
	s_or_b64 s[6:7], s[2:3], s[6:7]
	v_add_co_u32_e64 v2, s[2:3], s14, v2
	ds_write_b32 v11, v12
	v_add_u32_e32 v11, 4, v11
	v_addc_co_u32_e64 v3, s[2:3], v3, v9, s[2:3]
	s_andn2_b64 exec, exec, s[6:7]
	s_cbranch_execz .LBB0_9
.LBB0_6:                                ; =>This Inner Loop Header: Depth=1
	v_mov_b32_e32 v12, 0xff800000
	s_and_saveexec_b64 s[10:11], s[0:1]
	s_cbranch_execz .LBB0_5
; %bb.7:                                ;   in Loop: Header=BB0_6 Depth=1
	global_load_ubyte v12, v[2:3], off
	s_waitcnt vmcnt(0)
	v_cmp_ne_u16_e64 s[2:3], 1, v12
	v_mov_b32_e32 v12, 0xc61c4000
	s_and_saveexec_b64 s[18:19], s[2:3]
	s_cbranch_execz .LBB0_4
; %bb.8:                                ;   in Loop: Header=BB0_6 Depth=1
	global_load_ushort v12, v[4:5], off
	s_waitcnt vmcnt(0)
	v_cvt_f32_f16_e32 v12, v12
	v_mul_f32_e32 v12, s12, v12
	s_branch .LBB0_4
.LBB0_9:
	s_or_b64 exec, exec, s[6:7]
	ds_read2_b32 v[4:5], v6 offset1:1
.LBB0_10:
	s_or_b64 exec, exec, s[4:5]
	s_waitcnt lgkmcnt(0)
	v_pk_add_f32 v[2:3], v[4:5], v[4:5] neg_lo:[0,1] neg_hi:[0,1]
	s_mov_b32 s2, 0x3fb8aa3b
	v_mul_f32_e32 v1, 0x3fb8aa3b, v3
	v_fma_f32 v9, v3, s2, -v1
	v_rndne_f32_e32 v10, v1
	v_fmac_f32_e32 v9, 0x32a5705f, v3
	v_sub_f32_e32 v1, v1, v10
	v_add_f32_e32 v1, v1, v9
	v_exp_f32_e32 v1, v1
	v_cvt_i32_f32_e32 v9, v10
	s_mov_b32 s3, 0xc2ce8ed0
	v_cmp_ngt_f32_e64 s[0:1], s3, v3
	s_mov_b32 s4, 0x42b17218
	v_ldexp_f32 v1, v1, v9
	v_mul_f32_e32 v9, 0x3fb8aa3b, v2
	v_fma_f32 v10, v2, s2, -v9
	v_rndne_f32_e32 v11, v9
	v_fmac_f32_e32 v10, 0x32a5705f, v2
	v_sub_f32_e32 v9, v9, v11
	v_add_f32_e32 v9, v9, v10
	v_exp_f32_e32 v9, v9
	v_cvt_i32_f32_e32 v10, v11
	v_cndmask_b32_e64 v1, 0, v1, s[0:1]
	v_mov_b32_e32 v11, 0x7f800000
	v_cmp_nlt_f32_e64 s[0:1], s4, v3
	v_cndmask_b32_e64 v3, v11, v1, s[0:1]
	v_ldexp_f32 v1, v9, v10
	v_cmp_ngt_f32_e64 s[0:1], s3, v2
	v_cndmask_b32_e64 v1, 0, v1, s[0:1]
	v_cmp_nlt_f32_e64 s[0:1], s4, v2
	v_cndmask_b32_e64 v2, v11, v1, s[0:1]
	ds_write2_b32 v6, v2, v3 offset1:1
	s_and_saveexec_b64 s[0:1], vcc
	s_cbranch_execz .LBB0_17
; %bb.11:
	s_mov_b32 s0, 0xc61c4000
	v_cmp_eq_f32_e32 vcc, s0, v4
	v_ashrrev_i32_e32 v1, 31, v0
	v_cndmask_b32_e64 v4, 1.0, 0, vcc
	v_cmp_eq_f32_e32 vcc, s0, v5
	v_lshlrev_b64 v[0:1], 1, v[0:1]
	s_ashr_i32 s15, s14, 31
	v_cndmask_b32_e64 v5, 1.0, 0, vcc
	v_cmp_gt_i32_e64 s[0:1], s14, v8
	v_mov_b32_e32 v8, s17
	v_add_co_u32_e32 v0, vcc, s16, v0
	s_lshl_b64 s[2:3], s[14:15], 1
	v_addc_co_u32_e32 v1, vcc, v8, v1, vcc
	s_mov_b64 s[4:5], 0
	v_mov_b32_e32 v8, s3
	s_mov_b64 s[6:7], 0
	s_branch .LBB0_14
.LBB0_12:                               ;   in Loop: Header=BB0_14 Depth=1
	s_or_b64 exec, exec, s[10:11]
	global_store_short v[0:1], v9, off
.LBB0_13:                               ;   in Loop: Header=BB0_14 Depth=1
	s_or_b64 exec, exec, s[8:9]
	v_add_co_u32_e32 v0, vcc, s2, v0
	s_add_u32 s6, s6, 1
	v_addc_co_u32_e32 v1, vcc, v1, v8, vcc
	s_addc_u32 s7, s7, 0
	v_cmp_eq_u32_e32 vcc, s6, v7
	s_or_b64 s[4:5], vcc, s[4:5]
	v_add_u32_e32 v6, 4, v6
	s_andn2_b64 exec, exec, s[4:5]
	s_cbranch_execz .LBB0_17
.LBB0_14:                               ; =>This Inner Loop Header: Depth=1
	s_and_saveexec_b64 s[8:9], s[0:1]
	s_cbranch_execz .LBB0_13
; %bb.15:                               ;   in Loop: Header=BB0_14 Depth=1
	s_cmp_eq_u32 s6, 1
	s_cselect_b64 vcc, -1, 0
	v_cndmask_b32_e32 v9, v4, v5, vcc
	v_cmp_neq_f32_e32 vcc, 0, v9
	v_mov_b32_e32 v9, 0
	s_and_saveexec_b64 s[10:11], vcc
	s_cbranch_execz .LBB0_12
; %bb.16:                               ;   in Loop: Header=BB0_14 Depth=1
	ds_read_b32 v9, v6
	s_cmp_eq_u32 s6, 1
	s_cselect_b64 vcc, -1, 0
	v_cndmask_b32_e32 v10, v2, v3, vcc
	s_waitcnt lgkmcnt(0)
	v_div_scale_f32 v11, s[12:13], v10, v10, v9
	v_rcp_f32_e32 v12, v11
	v_div_scale_f32 v13, vcc, v9, v10, v9
	v_fma_f32 v14, -v11, v12, 1.0
	v_fmac_f32_e32 v12, v14, v12
	v_mul_f32_e32 v14, v13, v12
	v_fma_f32 v15, -v11, v14, v13
	v_fmac_f32_e32 v14, v15, v12
	v_fma_f32 v11, -v11, v14, v13
	v_div_fmas_f32 v11, v11, v12, v14
	v_div_fixup_f32 v9, v11, v10, v9
	v_cvt_f16_f32_e32 v9, v9
	s_branch .LBB0_12
.LBB0_17:
	s_endpgm
	.section	.rodata,"a",@progbits
	.p2align	6, 0x0
	.amdhsa_kernel _Z34scaled_masked_softmax_warp_forwardI6__halfS0_fLi0EEvPT0_PKT_PKhT1_iii
		.amdhsa_group_segment_fixed_size 8192
		.amdhsa_private_segment_fixed_size 0
		.amdhsa_kernarg_size 296
		.amdhsa_user_sgpr_count 8
		.amdhsa_user_sgpr_private_segment_buffer 1
		.amdhsa_user_sgpr_dispatch_ptr 1
		.amdhsa_user_sgpr_queue_ptr 0
		.amdhsa_user_sgpr_kernarg_segment_ptr 1
		.amdhsa_user_sgpr_dispatch_id 0
		.amdhsa_user_sgpr_flat_scratch_init 0
		.amdhsa_user_sgpr_kernarg_preload_length 0
		.amdhsa_user_sgpr_kernarg_preload_offset 0
		.amdhsa_user_sgpr_private_segment_size 0
		.amdhsa_uses_dynamic_stack 0
		.amdhsa_system_sgpr_private_segment_wavefront_offset 0
		.amdhsa_system_sgpr_workgroup_id_x 1
		.amdhsa_system_sgpr_workgroup_id_y 1
		.amdhsa_system_sgpr_workgroup_id_z 1
		.amdhsa_system_sgpr_workgroup_info 0
		.amdhsa_system_vgpr_workitem_id 2
		.amdhsa_next_free_vgpr 16
		.amdhsa_next_free_sgpr 24
		.amdhsa_accum_offset 16
		.amdhsa_reserve_vcc 1
		.amdhsa_reserve_flat_scratch 0
		.amdhsa_float_round_mode_32 0
		.amdhsa_float_round_mode_16_64 0
		.amdhsa_float_denorm_mode_32 3
		.amdhsa_float_denorm_mode_16_64 3
		.amdhsa_dx10_clamp 1
		.amdhsa_ieee_mode 1
		.amdhsa_fp16_overflow 0
		.amdhsa_tg_split 0
		.amdhsa_exception_fp_ieee_invalid_op 0
		.amdhsa_exception_fp_denorm_src 0
		.amdhsa_exception_fp_ieee_div_zero 0
		.amdhsa_exception_fp_ieee_overflow 0
		.amdhsa_exception_fp_ieee_underflow 0
		.amdhsa_exception_fp_ieee_inexact 0
		.amdhsa_exception_int_div_zero 0
	.end_amdhsa_kernel
	.section	.text._Z34scaled_masked_softmax_warp_forwardI6__halfS0_fLi0EEvPT0_PKT_PKhT1_iii,"axG",@progbits,_Z34scaled_masked_softmax_warp_forwardI6__halfS0_fLi0EEvPT0_PKT_PKhT1_iii,comdat
.Lfunc_end0:
	.size	_Z34scaled_masked_softmax_warp_forwardI6__halfS0_fLi0EEvPT0_PKT_PKhT1_iii, .Lfunc_end0-_Z34scaled_masked_softmax_warp_forwardI6__halfS0_fLi0EEvPT0_PKT_PKhT1_iii
                                        ; -- End function
	.section	.AMDGPU.csdata,"",@progbits
; Kernel info:
; codeLenInByte = 1012
; NumSgprs: 28
; NumVgprs: 16
; NumAgprs: 0
; TotalNumVgprs: 16
; ScratchSize: 0
; MemoryBound: 0
; FloatMode: 240
; IeeeMode: 1
; LDSByteSize: 8192 bytes/workgroup (compile time only)
; SGPRBlocks: 3
; VGPRBlocks: 1
; NumSGPRsForWavesPerEU: 28
; NumVGPRsForWavesPerEU: 16
; AccumOffset: 16
; Occupancy: 8
; WaveLimiterHint : 0
; COMPUTE_PGM_RSRC2:SCRATCH_EN: 0
; COMPUTE_PGM_RSRC2:USER_SGPR: 8
; COMPUTE_PGM_RSRC2:TRAP_HANDLER: 0
; COMPUTE_PGM_RSRC2:TGID_X_EN: 1
; COMPUTE_PGM_RSRC2:TGID_Y_EN: 1
; COMPUTE_PGM_RSRC2:TGID_Z_EN: 1
; COMPUTE_PGM_RSRC2:TIDIG_COMP_CNT: 2
; COMPUTE_PGM_RSRC3_GFX90A:ACCUM_OFFSET: 3
; COMPUTE_PGM_RSRC3_GFX90A:TG_SPLIT: 0
	.section	.text._Z34scaled_masked_softmax_warp_forwardI6__halfS0_fLi1EEvPT0_PKT_PKhT1_iii,"axG",@progbits,_Z34scaled_masked_softmax_warp_forwardI6__halfS0_fLi1EEvPT0_PKT_PKhT1_iii,comdat
	.protected	_Z34scaled_masked_softmax_warp_forwardI6__halfS0_fLi1EEvPT0_PKT_PKhT1_iii ; -- Begin function _Z34scaled_masked_softmax_warp_forwardI6__halfS0_fLi1EEvPT0_PKT_PKhT1_iii
	.globl	_Z34scaled_masked_softmax_warp_forwardI6__halfS0_fLi1EEvPT0_PKT_PKhT1_iii
	.p2align	8
	.type	_Z34scaled_masked_softmax_warp_forwardI6__halfS0_fLi1EEvPT0_PKT_PKhT1_iii,@function
_Z34scaled_masked_softmax_warp_forwardI6__halfS0_fLi1EEvPT0_PKT_PKhT1_iii: ; @_Z34scaled_masked_softmax_warp_forwardI6__halfS0_fLi1EEvPT0_PKT_PKhT1_iii
; %bb.0:
	s_load_dword s0, s[6:7], 0x34
	s_load_dwordx4 s[12:15], s[6:7], 0x18
	s_load_dwordx2 s[2:3], s[6:7], 0x28
	s_mov_b32 s11, s8
	s_waitcnt lgkmcnt(0)
	s_lshr_b32 s20, s0, 16
	s_cmp_eq_u32 s15, 1
	s_cbranch_scc1 .LBB1_2
; %bb.1:
	s_mul_i32 s0, s2, s10
	s_add_i32 s11, s0, s8
.LBB1_2:
	s_load_dwordx2 s[22:23], s[4:5], 0x4
	s_load_dwordx4 s[16:19], s[6:7], 0x0
	s_load_dwordx2 s[0:1], s[6:7], 0x10
	s_mul_i32 s3, s3, s10
	s_add_i32 s3, s3, s9
	s_waitcnt lgkmcnt(0)
	s_lshr_b32 s4, s22, 16
	v_and_b32_e32 v10, 0x3ff, v0
	s_mul_i32 s4, s4, s23
	s_mul_i32 s2, s2, s3
	v_bfe_u32 v1, v0, 10, 10
	v_mul_lo_u32 v2, s4, v10
	s_and_b32 s6, 0xffff, s20
	s_add_i32 s2, s2, s8
	v_mad_u32_u24 v2, v1, s23, v2
	v_bfe_u32 v0, v0, 20, 10
	s_mul_i32 s2, s2, s6
	v_add_lshl_u32 v8, v2, v0, 3
	v_add_u32_e32 v0, s2, v1
	v_lshlrev_b32_e32 v2, 1, v0
	v_sub_u32_e32 v2, s13, v2
	v_min_i32_e32 v3, 2, v2
	v_mul_lo_u32 v0, s14, v0
	v_cmp_lt_i32_e32 vcc, 0, v2
	v_max_i32_e32 v9, 1, v3
	v_lshl_add_u32 v0, v0, 1, v10
                                        ; implicit-def: $vgpr5
	s_and_saveexec_b64 s[4:5], vcc
	s_cbranch_execz .LBB1_10
; %bb.3:
	s_mul_i32 s2, s11, s6
	v_add_u32_e32 v1, s2, v1
	v_mul_lo_u32 v1, s14, v1
	v_lshl_add_u32 v1, v1, 1, v10
	v_ashrrev_i32_e32 v3, 31, v1
	v_mov_b32_e32 v4, s1
	v_add_co_u32_e64 v2, s[0:1], s0, v1
	v_ashrrev_i32_e32 v1, 31, v0
	v_addc_co_u32_e64 v3, s[0:1], v4, v3, s[0:1]
	v_lshlrev_b64 v[4:5], 1, v[0:1]
	s_ashr_i32 s15, s14, 31
	v_mov_b32_e32 v1, s19
	v_add_co_u32_e64 v4, s[2:3], s18, v4
	s_lshl_b64 s[8:9], s[14:15], 1
	v_cmp_gt_i32_e64 s[0:1], s14, v10
	v_addc_co_u32_e64 v5, s[2:3], v1, v5, s[2:3]
	s_mov_b64 s[6:7], 0
	v_mov_b32_e32 v1, s9
	v_mov_b32_e32 v6, s15
	;; [unrolled: 1-line block ×4, first 2 shown]
	s_branch .LBB1_6
.LBB1_4:                                ;   in Loop: Header=BB1_6 Depth=1
	s_or_b64 exec, exec, s[18:19]
.LBB1_5:                                ;   in Loop: Header=BB1_6 Depth=1
	s_or_b64 exec, exec, s[10:11]
	v_add_co_u32_e64 v4, s[2:3], s8, v4
	v_add_u32_e32 v7, -1, v7
	v_addc_co_u32_e64 v5, s[2:3], v5, v1, s[2:3]
	v_cmp_eq_u32_e64 s[2:3], 0, v7
	s_or_b64 s[6:7], s[2:3], s[6:7]
	v_add_co_u32_e64 v2, s[2:3], s14, v2
	ds_write_b32 v11, v12
	v_add_u32_e32 v11, 4, v11
	v_addc_co_u32_e64 v3, s[2:3], v3, v6, s[2:3]
	s_andn2_b64 exec, exec, s[6:7]
	s_cbranch_execz .LBB1_9
.LBB1_6:                                ; =>This Inner Loop Header: Depth=1
	v_mov_b32_e32 v12, 0xff800000
	s_and_saveexec_b64 s[10:11], s[0:1]
	s_cbranch_execz .LBB1_5
; %bb.7:                                ;   in Loop: Header=BB1_6 Depth=1
	global_load_ubyte v12, v[2:3], off
	s_waitcnt vmcnt(0)
	v_cmp_ne_u16_e64 s[2:3], 1, v12
	v_mov_b32_e32 v12, 0xc61c4000
	s_and_saveexec_b64 s[18:19], s[2:3]
	s_cbranch_execz .LBB1_4
; %bb.8:                                ;   in Loop: Header=BB1_6 Depth=1
	global_load_ushort v12, v[4:5], off
	s_waitcnt vmcnt(0)
	v_cvt_f32_f16_e32 v12, v12
	v_mul_f32_e32 v12, s12, v12
	s_branch .LBB1_4
.LBB1_9:
	s_or_b64 exec, exec, s[6:7]
	ds_read2_b32 v[4:5], v8 offset1:1
.LBB1_10:
	s_or_b64 exec, exec, s[4:5]
	v_mbcnt_lo_u32_b32 v1, -1, 0
	v_mbcnt_hi_u32_b32 v1, -1, v1
	v_and_b32_e32 v3, 0x7e, v1
	v_xor_b32_e32 v2, 1, v1
	v_add_u32_e32 v3, 2, v3
	v_cmp_lt_i32_e64 s[0:1], v2, v3
	v_cndmask_b32_e64 v1, v1, v2, s[0:1]
	v_lshlrev_b32_e32 v1, 2, v1
	s_waitcnt lgkmcnt(0)
	ds_bpermute_b32 v2, v1, v5
	ds_bpermute_b32 v6, v1, v4
	s_mov_b32 s2, 0x3fb8aa3b
	s_mov_b32 s3, 0xc2ce8ed0
	;; [unrolled: 1-line block ×3, first 2 shown]
	s_waitcnt lgkmcnt(1)
	v_cmp_lt_f32_e64 s[0:1], v5, v2
	v_cndmask_b32_e64 v3, v5, v2, s[0:1]
	s_waitcnt lgkmcnt(0)
	v_cmp_lt_f32_e64 s[0:1], v4, v6
	v_cndmask_b32_e64 v2, v4, v6, s[0:1]
	v_pk_add_f32 v[4:5], v[4:5], v[2:3] neg_lo:[0,1] neg_hi:[0,1]
	v_mul_f32_e32 v6, 0x3fb8aa3b, v5
	v_fma_f32 v7, v5, s2, -v6
	v_rndne_f32_e32 v11, v6
	v_fmac_f32_e32 v7, 0x32a5705f, v5
	v_sub_f32_e32 v6, v6, v11
	v_add_f32_e32 v6, v6, v7
	v_exp_f32_e32 v6, v6
	v_cvt_i32_f32_e32 v7, v11
	v_cmp_ngt_f32_e64 s[0:1], s3, v5
	v_ldexp_f32 v6, v6, v7
	v_mul_f32_e32 v7, 0x3fb8aa3b, v4
	v_fma_f32 v11, v4, s2, -v7
	v_rndne_f32_e32 v12, v7
	v_fmac_f32_e32 v11, 0x32a5705f, v4
	v_sub_f32_e32 v7, v7, v12
	v_add_f32_e32 v7, v7, v11
	v_exp_f32_e32 v7, v7
	v_cvt_i32_f32_e32 v11, v12
	v_cndmask_b32_e64 v6, 0, v6, s[0:1]
	v_mov_b32_e32 v12, 0x7f800000
	v_cmp_nlt_f32_e64 s[0:1], s4, v5
	v_cndmask_b32_e64 v5, v12, v6, s[0:1]
	v_ldexp_f32 v6, v7, v11
	v_cmp_ngt_f32_e64 s[0:1], s3, v4
	v_cndmask_b32_e64 v6, 0, v6, s[0:1]
	v_cmp_nlt_f32_e64 s[0:1], s4, v4
	v_cndmask_b32_e64 v4, v12, v6, s[0:1]
	ds_bpermute_b32 v6, v1, v4
	ds_bpermute_b32 v7, v1, v5
	ds_write2_b32 v8, v4, v5 offset1:1
	s_and_saveexec_b64 s[0:1], vcc
	s_cbranch_execz .LBB1_17
; %bb.11:
	s_mov_b32 s0, 0xc61c4000
	v_cmp_eq_f32_e32 vcc, s0, v2
	v_ashrrev_i32_e32 v1, 31, v0
	v_cndmask_b32_e64 v2, 1.0, 0, vcc
	v_cmp_eq_f32_e32 vcc, s0, v3
	v_lshlrev_b64 v[0:1], 1, v[0:1]
	s_ashr_i32 s15, s14, 31
	v_cndmask_b32_e64 v3, 1.0, 0, vcc
	s_waitcnt lgkmcnt(1)
	v_pk_add_f32 v[4:5], v[4:5], v[6:7]
	v_mov_b32_e32 v6, s17
	v_add_co_u32_e32 v0, vcc, s16, v0
	s_lshl_b64 s[2:3], s[14:15], 1
	v_cmp_gt_i32_e64 s[0:1], s14, v10
	v_addc_co_u32_e32 v1, vcc, v6, v1, vcc
	s_mov_b64 s[4:5], 0
	v_mov_b32_e32 v6, s3
	s_mov_b64 s[6:7], 0
	s_branch .LBB1_14
.LBB1_12:                               ;   in Loop: Header=BB1_14 Depth=1
	s_or_b64 exec, exec, s[10:11]
	global_store_short v[0:1], v7, off
.LBB1_13:                               ;   in Loop: Header=BB1_14 Depth=1
	s_or_b64 exec, exec, s[8:9]
	v_add_co_u32_e32 v0, vcc, s2, v0
	s_add_u32 s6, s6, 1
	v_addc_co_u32_e32 v1, vcc, v1, v6, vcc
	s_addc_u32 s7, s7, 0
	v_cmp_eq_u32_e32 vcc, s6, v9
	s_or_b64 s[4:5], vcc, s[4:5]
	v_add_u32_e32 v8, 4, v8
	s_andn2_b64 exec, exec, s[4:5]
	s_cbranch_execz .LBB1_17
.LBB1_14:                               ; =>This Inner Loop Header: Depth=1
	s_and_saveexec_b64 s[8:9], s[0:1]
	s_cbranch_execz .LBB1_13
; %bb.15:                               ;   in Loop: Header=BB1_14 Depth=1
	s_cmp_eq_u32 s6, 1
	s_cselect_b64 vcc, -1, 0
	v_cndmask_b32_e32 v7, v2, v3, vcc
	v_cmp_neq_f32_e32 vcc, 0, v7
	v_mov_b32_e32 v7, 0
	s_and_saveexec_b64 s[10:11], vcc
	s_cbranch_execz .LBB1_12
; %bb.16:                               ;   in Loop: Header=BB1_14 Depth=1
	ds_read_b32 v7, v8
	s_cmp_eq_u32 s6, 1
	s_cselect_b64 vcc, -1, 0
	v_cndmask_b32_e32 v10, v4, v5, vcc
	s_waitcnt lgkmcnt(0)
	v_div_scale_f32 v11, s[12:13], v10, v10, v7
	v_rcp_f32_e32 v12, v11
	v_div_scale_f32 v13, vcc, v7, v10, v7
	v_fma_f32 v14, -v11, v12, 1.0
	v_fmac_f32_e32 v12, v14, v12
	v_mul_f32_e32 v14, v13, v12
	v_fma_f32 v15, -v11, v14, v13
	v_fmac_f32_e32 v14, v15, v12
	v_fma_f32 v11, -v11, v14, v13
	v_div_fmas_f32 v11, v11, v12, v14
	v_div_fixup_f32 v7, v11, v10, v7
	v_cvt_f16_f32_e32 v7, v7
	s_branch .LBB1_12
.LBB1_17:
	s_endpgm
	.section	.rodata,"a",@progbits
	.p2align	6, 0x0
	.amdhsa_kernel _Z34scaled_masked_softmax_warp_forwardI6__halfS0_fLi1EEvPT0_PKT_PKhT1_iii
		.amdhsa_group_segment_fixed_size 8192
		.amdhsa_private_segment_fixed_size 0
		.amdhsa_kernarg_size 296
		.amdhsa_user_sgpr_count 8
		.amdhsa_user_sgpr_private_segment_buffer 1
		.amdhsa_user_sgpr_dispatch_ptr 1
		.amdhsa_user_sgpr_queue_ptr 0
		.amdhsa_user_sgpr_kernarg_segment_ptr 1
		.amdhsa_user_sgpr_dispatch_id 0
		.amdhsa_user_sgpr_flat_scratch_init 0
		.amdhsa_user_sgpr_kernarg_preload_length 0
		.amdhsa_user_sgpr_kernarg_preload_offset 0
		.amdhsa_user_sgpr_private_segment_size 0
		.amdhsa_uses_dynamic_stack 0
		.amdhsa_system_sgpr_private_segment_wavefront_offset 0
		.amdhsa_system_sgpr_workgroup_id_x 1
		.amdhsa_system_sgpr_workgroup_id_y 1
		.amdhsa_system_sgpr_workgroup_id_z 1
		.amdhsa_system_sgpr_workgroup_info 0
		.amdhsa_system_vgpr_workitem_id 2
		.amdhsa_next_free_vgpr 16
		.amdhsa_next_free_sgpr 24
		.amdhsa_accum_offset 16
		.amdhsa_reserve_vcc 1
		.amdhsa_reserve_flat_scratch 0
		.amdhsa_float_round_mode_32 0
		.amdhsa_float_round_mode_16_64 0
		.amdhsa_float_denorm_mode_32 3
		.amdhsa_float_denorm_mode_16_64 3
		.amdhsa_dx10_clamp 1
		.amdhsa_ieee_mode 1
		.amdhsa_fp16_overflow 0
		.amdhsa_tg_split 0
		.amdhsa_exception_fp_ieee_invalid_op 0
		.amdhsa_exception_fp_denorm_src 0
		.amdhsa_exception_fp_ieee_div_zero 0
		.amdhsa_exception_fp_ieee_overflow 0
		.amdhsa_exception_fp_ieee_underflow 0
		.amdhsa_exception_fp_ieee_inexact 0
		.amdhsa_exception_int_div_zero 0
	.end_amdhsa_kernel
	.section	.text._Z34scaled_masked_softmax_warp_forwardI6__halfS0_fLi1EEvPT0_PKT_PKhT1_iii,"axG",@progbits,_Z34scaled_masked_softmax_warp_forwardI6__halfS0_fLi1EEvPT0_PKT_PKhT1_iii,comdat
.Lfunc_end1:
	.size	_Z34scaled_masked_softmax_warp_forwardI6__halfS0_fLi1EEvPT0_PKT_PKhT1_iii, .Lfunc_end1-_Z34scaled_masked_softmax_warp_forwardI6__halfS0_fLi1EEvPT0_PKT_PKhT1_iii
                                        ; -- End function
	.section	.AMDGPU.csdata,"",@progbits
; Kernel info:
; codeLenInByte = 1148
; NumSgprs: 28
; NumVgprs: 16
; NumAgprs: 0
; TotalNumVgprs: 16
; ScratchSize: 0
; MemoryBound: 0
; FloatMode: 240
; IeeeMode: 1
; LDSByteSize: 8192 bytes/workgroup (compile time only)
; SGPRBlocks: 3
; VGPRBlocks: 1
; NumSGPRsForWavesPerEU: 28
; NumVGPRsForWavesPerEU: 16
; AccumOffset: 16
; Occupancy: 8
; WaveLimiterHint : 0
; COMPUTE_PGM_RSRC2:SCRATCH_EN: 0
; COMPUTE_PGM_RSRC2:USER_SGPR: 8
; COMPUTE_PGM_RSRC2:TRAP_HANDLER: 0
; COMPUTE_PGM_RSRC2:TGID_X_EN: 1
; COMPUTE_PGM_RSRC2:TGID_Y_EN: 1
; COMPUTE_PGM_RSRC2:TGID_Z_EN: 1
; COMPUTE_PGM_RSRC2:TIDIG_COMP_CNT: 2
; COMPUTE_PGM_RSRC3_GFX90A:ACCUM_OFFSET: 3
; COMPUTE_PGM_RSRC3_GFX90A:TG_SPLIT: 0
	.section	.text._Z34scaled_masked_softmax_warp_forwardI6__halfS0_fLi2EEvPT0_PKT_PKhT1_iii,"axG",@progbits,_Z34scaled_masked_softmax_warp_forwardI6__halfS0_fLi2EEvPT0_PKT_PKhT1_iii,comdat
	.protected	_Z34scaled_masked_softmax_warp_forwardI6__halfS0_fLi2EEvPT0_PKT_PKhT1_iii ; -- Begin function _Z34scaled_masked_softmax_warp_forwardI6__halfS0_fLi2EEvPT0_PKT_PKhT1_iii
	.globl	_Z34scaled_masked_softmax_warp_forwardI6__halfS0_fLi2EEvPT0_PKT_PKhT1_iii
	.p2align	8
	.type	_Z34scaled_masked_softmax_warp_forwardI6__halfS0_fLi2EEvPT0_PKT_PKhT1_iii,@function
_Z34scaled_masked_softmax_warp_forwardI6__halfS0_fLi2EEvPT0_PKT_PKhT1_iii: ; @_Z34scaled_masked_softmax_warp_forwardI6__halfS0_fLi2EEvPT0_PKT_PKhT1_iii
; %bb.0:
	s_load_dword s0, s[6:7], 0x34
	s_load_dwordx4 s[12:15], s[6:7], 0x18
	s_load_dwordx2 s[2:3], s[6:7], 0x28
	s_mov_b32 s11, s8
	s_waitcnt lgkmcnt(0)
	s_lshr_b32 s20, s0, 16
	s_cmp_eq_u32 s15, 1
	s_cbranch_scc1 .LBB2_2
; %bb.1:
	s_mul_i32 s0, s2, s10
	s_add_i32 s11, s0, s8
.LBB2_2:
	s_load_dwordx2 s[22:23], s[4:5], 0x4
	s_load_dwordx4 s[16:19], s[6:7], 0x0
	s_load_dwordx2 s[0:1], s[6:7], 0x10
	s_mul_i32 s3, s3, s10
	s_add_i32 s3, s3, s9
	s_waitcnt lgkmcnt(0)
	s_lshr_b32 s4, s22, 16
	v_and_b32_e32 v10, 0x3ff, v0
	s_mul_i32 s4, s4, s23
	s_mul_i32 s2, s2, s3
	v_bfe_u32 v1, v0, 10, 10
	v_mul_lo_u32 v2, s4, v10
	s_and_b32 s6, 0xffff, s20
	s_add_i32 s2, s2, s8
	v_mad_u32_u24 v2, v1, s23, v2
	v_bfe_u32 v0, v0, 20, 10
	s_mul_i32 s2, s2, s6
	v_add_lshl_u32 v8, v2, v0, 3
	v_add_u32_e32 v0, s2, v1
	v_lshlrev_b32_e32 v2, 1, v0
	v_sub_u32_e32 v2, s13, v2
	v_min_i32_e32 v3, 2, v2
	v_mul_lo_u32 v0, s14, v0
	v_cmp_lt_i32_e32 vcc, 0, v2
	v_max_i32_e32 v9, 1, v3
	v_lshl_add_u32 v0, v0, 1, v10
                                        ; implicit-def: $vgpr5
	s_and_saveexec_b64 s[4:5], vcc
	s_cbranch_execz .LBB2_10
; %bb.3:
	s_mul_i32 s2, s11, s6
	v_add_u32_e32 v1, s2, v1
	v_mul_lo_u32 v1, s14, v1
	v_lshl_add_u32 v1, v1, 1, v10
	v_ashrrev_i32_e32 v3, 31, v1
	v_mov_b32_e32 v4, s1
	v_add_co_u32_e64 v2, s[0:1], s0, v1
	v_ashrrev_i32_e32 v1, 31, v0
	v_addc_co_u32_e64 v3, s[0:1], v4, v3, s[0:1]
	v_lshlrev_b64 v[4:5], 1, v[0:1]
	s_ashr_i32 s15, s14, 31
	v_mov_b32_e32 v1, s19
	v_add_co_u32_e64 v4, s[2:3], s18, v4
	s_lshl_b64 s[8:9], s[14:15], 1
	v_cmp_gt_i32_e64 s[0:1], s14, v10
	v_addc_co_u32_e64 v5, s[2:3], v1, v5, s[2:3]
	s_mov_b64 s[6:7], 0
	v_mov_b32_e32 v1, s9
	v_mov_b32_e32 v6, s15
	;; [unrolled: 1-line block ×4, first 2 shown]
	s_branch .LBB2_6
.LBB2_4:                                ;   in Loop: Header=BB2_6 Depth=1
	s_or_b64 exec, exec, s[18:19]
.LBB2_5:                                ;   in Loop: Header=BB2_6 Depth=1
	s_or_b64 exec, exec, s[10:11]
	v_add_co_u32_e64 v4, s[2:3], s8, v4
	v_add_u32_e32 v7, -1, v7
	v_addc_co_u32_e64 v5, s[2:3], v5, v1, s[2:3]
	v_cmp_eq_u32_e64 s[2:3], 0, v7
	s_or_b64 s[6:7], s[2:3], s[6:7]
	v_add_co_u32_e64 v2, s[2:3], s14, v2
	ds_write_b32 v11, v12
	v_add_u32_e32 v11, 4, v11
	v_addc_co_u32_e64 v3, s[2:3], v3, v6, s[2:3]
	s_andn2_b64 exec, exec, s[6:7]
	s_cbranch_execz .LBB2_9
.LBB2_6:                                ; =>This Inner Loop Header: Depth=1
	v_mov_b32_e32 v12, 0xff800000
	s_and_saveexec_b64 s[10:11], s[0:1]
	s_cbranch_execz .LBB2_5
; %bb.7:                                ;   in Loop: Header=BB2_6 Depth=1
	global_load_ubyte v12, v[2:3], off
	s_waitcnt vmcnt(0)
	v_cmp_ne_u16_e64 s[2:3], 1, v12
	v_mov_b32_e32 v12, 0xc61c4000
	s_and_saveexec_b64 s[18:19], s[2:3]
	s_cbranch_execz .LBB2_4
; %bb.8:                                ;   in Loop: Header=BB2_6 Depth=1
	global_load_ushort v12, v[4:5], off
	s_waitcnt vmcnt(0)
	v_cvt_f32_f16_e32 v12, v12
	v_mul_f32_e32 v12, s12, v12
	s_branch .LBB2_4
.LBB2_9:
	s_or_b64 exec, exec, s[6:7]
	ds_read2_b32 v[4:5], v8 offset1:1
.LBB2_10:
	s_or_b64 exec, exec, s[4:5]
	v_mbcnt_lo_u32_b32 v1, -1, 0
	v_mbcnt_hi_u32_b32 v1, -1, v1
	v_and_b32_e32 v2, 0x7c, v1
	v_add_u32_e32 v2, 4, v2
	v_xor_b32_e32 v3, 2, v1
	v_cmp_lt_i32_e64 s[0:1], v3, v2
	v_cndmask_b32_e64 v3, v1, v3, s[0:1]
	v_lshlrev_b32_e32 v6, 2, v3
	s_waitcnt lgkmcnt(0)
	ds_bpermute_b32 v7, v6, v5
	ds_bpermute_b32 v3, v6, v4
	v_xor_b32_e32 v11, 1, v1
	v_cmp_lt_i32_e64 s[0:1], v11, v2
	v_cndmask_b32_e64 v1, v1, v11, s[0:1]
	s_waitcnt lgkmcnt(1)
	v_cmp_lt_f32_e64 s[0:1], v5, v7
	v_lshlrev_b32_e32 v1, 2, v1
	v_cndmask_b32_e64 v2, v5, v7, s[0:1]
	s_waitcnt lgkmcnt(0)
	v_cmp_lt_f32_e64 s[0:1], v4, v3
	ds_bpermute_b32 v7, v1, v2
	v_cndmask_b32_e64 v11, v4, v3, s[0:1]
	ds_bpermute_b32 v12, v1, v11
	s_mov_b32 s2, 0x3fb8aa3b
	s_mov_b32 s3, 0xc2ce8ed0
	s_waitcnt lgkmcnt(1)
	v_cmp_lt_f32_e64 s[0:1], v2, v7
	v_cndmask_b32_e64 v3, v2, v7, s[0:1]
	s_waitcnt lgkmcnt(0)
	v_cmp_lt_f32_e64 s[0:1], v11, v12
	v_cndmask_b32_e64 v2, v11, v12, s[0:1]
	v_pk_add_f32 v[4:5], v[4:5], v[2:3] neg_lo:[0,1] neg_hi:[0,1]
	v_mul_f32_e32 v7, 0x3fb8aa3b, v5
	v_fma_f32 v11, v5, s2, -v7
	v_rndne_f32_e32 v12, v7
	v_fmac_f32_e32 v11, 0x32a5705f, v5
	v_sub_f32_e32 v7, v7, v12
	v_add_f32_e32 v7, v7, v11
	v_exp_f32_e32 v7, v7
	v_cvt_i32_f32_e32 v11, v12
	v_cmp_ngt_f32_e64 s[0:1], s3, v5
	s_mov_b32 s4, 0x42b17218
	v_mov_b32_e32 v14, 0x7f800000
	v_ldexp_f32 v7, v7, v11
	v_mul_f32_e32 v11, 0x3fb8aa3b, v4
	v_fma_f32 v12, v4, s2, -v11
	v_rndne_f32_e32 v13, v11
	v_fmac_f32_e32 v12, 0x32a5705f, v4
	v_sub_f32_e32 v11, v11, v13
	v_add_f32_e32 v11, v11, v12
	v_exp_f32_e32 v11, v11
	v_cvt_i32_f32_e32 v12, v13
	v_cndmask_b32_e64 v7, 0, v7, s[0:1]
	v_cmp_nlt_f32_e64 s[0:1], s4, v5
	v_cndmask_b32_e64 v13, v14, v7, s[0:1]
	v_ldexp_f32 v5, v11, v12
	v_cmp_ngt_f32_e64 s[0:1], s3, v4
	v_cndmask_b32_e64 v5, 0, v5, s[0:1]
	v_cmp_nlt_f32_e64 s[0:1], s4, v4
	v_cndmask_b32_e64 v12, v14, v5, s[0:1]
	ds_bpermute_b32 v4, v6, v12
	ds_bpermute_b32 v5, v6, v13
	ds_write2_b32 v8, v12, v13 offset1:1
	s_waitcnt lgkmcnt(1)
	v_pk_add_f32 v[4:5], v[12:13], v[4:5]
	ds_bpermute_b32 v6, v1, v4
	ds_bpermute_b32 v7, v1, v5
	s_and_saveexec_b64 s[0:1], vcc
	s_cbranch_execz .LBB2_17
; %bb.11:
	s_mov_b32 s0, 0xc61c4000
	v_cmp_eq_f32_e32 vcc, s0, v2
	v_ashrrev_i32_e32 v1, 31, v0
	v_cndmask_b32_e64 v2, 1.0, 0, vcc
	v_cmp_eq_f32_e32 vcc, s0, v3
	v_lshlrev_b64 v[0:1], 1, v[0:1]
	s_ashr_i32 s15, s14, 31
	v_cndmask_b32_e64 v3, 1.0, 0, vcc
	s_waitcnt lgkmcnt(0)
	v_pk_add_f32 v[4:5], v[4:5], v[6:7]
	v_mov_b32_e32 v6, s17
	v_add_co_u32_e32 v0, vcc, s16, v0
	s_lshl_b64 s[2:3], s[14:15], 1
	v_cmp_gt_i32_e64 s[0:1], s14, v10
	v_addc_co_u32_e32 v1, vcc, v6, v1, vcc
	s_mov_b64 s[4:5], 0
	v_mov_b32_e32 v6, s3
	s_mov_b64 s[6:7], 0
	s_branch .LBB2_14
.LBB2_12:                               ;   in Loop: Header=BB2_14 Depth=1
	s_or_b64 exec, exec, s[10:11]
	global_store_short v[0:1], v7, off
.LBB2_13:                               ;   in Loop: Header=BB2_14 Depth=1
	s_or_b64 exec, exec, s[8:9]
	v_add_co_u32_e32 v0, vcc, s2, v0
	s_add_u32 s6, s6, 1
	v_addc_co_u32_e32 v1, vcc, v1, v6, vcc
	s_addc_u32 s7, s7, 0
	v_cmp_eq_u32_e32 vcc, s6, v9
	s_or_b64 s[4:5], vcc, s[4:5]
	v_add_u32_e32 v8, 4, v8
	s_andn2_b64 exec, exec, s[4:5]
	s_cbranch_execz .LBB2_17
.LBB2_14:                               ; =>This Inner Loop Header: Depth=1
	s_and_saveexec_b64 s[8:9], s[0:1]
	s_cbranch_execz .LBB2_13
; %bb.15:                               ;   in Loop: Header=BB2_14 Depth=1
	s_cmp_eq_u32 s6, 1
	s_cselect_b64 vcc, -1, 0
	v_cndmask_b32_e32 v7, v2, v3, vcc
	v_cmp_neq_f32_e32 vcc, 0, v7
	v_mov_b32_e32 v7, 0
	s_and_saveexec_b64 s[10:11], vcc
	s_cbranch_execz .LBB2_12
; %bb.16:                               ;   in Loop: Header=BB2_14 Depth=1
	ds_read_b32 v7, v8
	s_cmp_eq_u32 s6, 1
	s_cselect_b64 vcc, -1, 0
	v_cndmask_b32_e32 v10, v4, v5, vcc
	s_waitcnt lgkmcnt(0)
	v_div_scale_f32 v11, s[12:13], v10, v10, v7
	v_rcp_f32_e32 v12, v11
	v_div_scale_f32 v13, vcc, v7, v10, v7
	v_fma_f32 v14, -v11, v12, 1.0
	v_fmac_f32_e32 v12, v14, v12
	v_mul_f32_e32 v14, v13, v12
	v_fma_f32 v15, -v11, v14, v13
	v_fmac_f32_e32 v14, v15, v12
	v_fma_f32 v11, -v11, v14, v13
	v_div_fmas_f32 v11, v11, v12, v14
	v_div_fixup_f32 v7, v11, v10, v7
	v_cvt_f16_f32_e32 v7, v7
	s_branch .LBB2_12
.LBB2_17:
	s_endpgm
	.section	.rodata,"a",@progbits
	.p2align	6, 0x0
	.amdhsa_kernel _Z34scaled_masked_softmax_warp_forwardI6__halfS0_fLi2EEvPT0_PKT_PKhT1_iii
		.amdhsa_group_segment_fixed_size 8192
		.amdhsa_private_segment_fixed_size 0
		.amdhsa_kernarg_size 296
		.amdhsa_user_sgpr_count 8
		.amdhsa_user_sgpr_private_segment_buffer 1
		.amdhsa_user_sgpr_dispatch_ptr 1
		.amdhsa_user_sgpr_queue_ptr 0
		.amdhsa_user_sgpr_kernarg_segment_ptr 1
		.amdhsa_user_sgpr_dispatch_id 0
		.amdhsa_user_sgpr_flat_scratch_init 0
		.amdhsa_user_sgpr_kernarg_preload_length 0
		.amdhsa_user_sgpr_kernarg_preload_offset 0
		.amdhsa_user_sgpr_private_segment_size 0
		.amdhsa_uses_dynamic_stack 0
		.amdhsa_system_sgpr_private_segment_wavefront_offset 0
		.amdhsa_system_sgpr_workgroup_id_x 1
		.amdhsa_system_sgpr_workgroup_id_y 1
		.amdhsa_system_sgpr_workgroup_id_z 1
		.amdhsa_system_sgpr_workgroup_info 0
		.amdhsa_system_vgpr_workitem_id 2
		.amdhsa_next_free_vgpr 16
		.amdhsa_next_free_sgpr 24
		.amdhsa_accum_offset 16
		.amdhsa_reserve_vcc 1
		.amdhsa_reserve_flat_scratch 0
		.amdhsa_float_round_mode_32 0
		.amdhsa_float_round_mode_16_64 0
		.amdhsa_float_denorm_mode_32 3
		.amdhsa_float_denorm_mode_16_64 3
		.amdhsa_dx10_clamp 1
		.amdhsa_ieee_mode 1
		.amdhsa_fp16_overflow 0
		.amdhsa_tg_split 0
		.amdhsa_exception_fp_ieee_invalid_op 0
		.amdhsa_exception_fp_denorm_src 0
		.amdhsa_exception_fp_ieee_div_zero 0
		.amdhsa_exception_fp_ieee_overflow 0
		.amdhsa_exception_fp_ieee_underflow 0
		.amdhsa_exception_fp_ieee_inexact 0
		.amdhsa_exception_int_div_zero 0
	.end_amdhsa_kernel
	.section	.text._Z34scaled_masked_softmax_warp_forwardI6__halfS0_fLi2EEvPT0_PKT_PKhT1_iii,"axG",@progbits,_Z34scaled_masked_softmax_warp_forwardI6__halfS0_fLi2EEvPT0_PKT_PKhT1_iii,comdat
.Lfunc_end2:
	.size	_Z34scaled_masked_softmax_warp_forwardI6__halfS0_fLi2EEvPT0_PKT_PKhT1_iii, .Lfunc_end2-_Z34scaled_masked_softmax_warp_forwardI6__halfS0_fLi2EEvPT0_PKT_PKhT1_iii
                                        ; -- End function
	.section	.AMDGPU.csdata,"",@progbits
; Kernel info:
; codeLenInByte = 1256
; NumSgprs: 28
; NumVgprs: 16
; NumAgprs: 0
; TotalNumVgprs: 16
; ScratchSize: 0
; MemoryBound: 0
; FloatMode: 240
; IeeeMode: 1
; LDSByteSize: 8192 bytes/workgroup (compile time only)
; SGPRBlocks: 3
; VGPRBlocks: 1
; NumSGPRsForWavesPerEU: 28
; NumVGPRsForWavesPerEU: 16
; AccumOffset: 16
; Occupancy: 8
; WaveLimiterHint : 0
; COMPUTE_PGM_RSRC2:SCRATCH_EN: 0
; COMPUTE_PGM_RSRC2:USER_SGPR: 8
; COMPUTE_PGM_RSRC2:TRAP_HANDLER: 0
; COMPUTE_PGM_RSRC2:TGID_X_EN: 1
; COMPUTE_PGM_RSRC2:TGID_Y_EN: 1
; COMPUTE_PGM_RSRC2:TGID_Z_EN: 1
; COMPUTE_PGM_RSRC2:TIDIG_COMP_CNT: 2
; COMPUTE_PGM_RSRC3_GFX90A:ACCUM_OFFSET: 3
; COMPUTE_PGM_RSRC3_GFX90A:TG_SPLIT: 0
	.section	.text._Z34scaled_masked_softmax_warp_forwardI6__halfS0_fLi3EEvPT0_PKT_PKhT1_iii,"axG",@progbits,_Z34scaled_masked_softmax_warp_forwardI6__halfS0_fLi3EEvPT0_PKT_PKhT1_iii,comdat
	.protected	_Z34scaled_masked_softmax_warp_forwardI6__halfS0_fLi3EEvPT0_PKT_PKhT1_iii ; -- Begin function _Z34scaled_masked_softmax_warp_forwardI6__halfS0_fLi3EEvPT0_PKT_PKhT1_iii
	.globl	_Z34scaled_masked_softmax_warp_forwardI6__halfS0_fLi3EEvPT0_PKT_PKhT1_iii
	.p2align	8
	.type	_Z34scaled_masked_softmax_warp_forwardI6__halfS0_fLi3EEvPT0_PKT_PKhT1_iii,@function
_Z34scaled_masked_softmax_warp_forwardI6__halfS0_fLi3EEvPT0_PKT_PKhT1_iii: ; @_Z34scaled_masked_softmax_warp_forwardI6__halfS0_fLi3EEvPT0_PKT_PKhT1_iii
; %bb.0:
	s_load_dword s0, s[6:7], 0x34
	s_load_dwordx4 s[12:15], s[6:7], 0x18
	s_load_dwordx2 s[2:3], s[6:7], 0x28
	s_mov_b32 s11, s8
	s_waitcnt lgkmcnt(0)
	s_lshr_b32 s20, s0, 16
	s_cmp_eq_u32 s15, 1
	s_cbranch_scc1 .LBB3_2
; %bb.1:
	s_mul_i32 s0, s2, s10
	s_add_i32 s11, s0, s8
.LBB3_2:
	s_load_dwordx2 s[22:23], s[4:5], 0x4
	s_load_dwordx4 s[16:19], s[6:7], 0x0
	s_load_dwordx2 s[0:1], s[6:7], 0x10
	s_mul_i32 s3, s3, s10
	s_add_i32 s3, s3, s9
	s_waitcnt lgkmcnt(0)
	s_lshr_b32 s4, s22, 16
	v_and_b32_e32 v10, 0x3ff, v0
	s_mul_i32 s4, s4, s23
	s_mul_i32 s2, s2, s3
	v_bfe_u32 v1, v0, 10, 10
	v_mul_lo_u32 v2, s4, v10
	s_and_b32 s6, 0xffff, s20
	s_add_i32 s2, s2, s8
	v_mad_u32_u24 v2, v1, s23, v2
	v_bfe_u32 v0, v0, 20, 10
	s_mul_i32 s2, s2, s6
	v_add_lshl_u32 v8, v2, v0, 3
	v_add_u32_e32 v0, s2, v1
	v_lshlrev_b32_e32 v2, 1, v0
	v_sub_u32_e32 v2, s13, v2
	v_min_i32_e32 v3, 2, v2
	v_mul_lo_u32 v0, s14, v0
	v_cmp_lt_i32_e32 vcc, 0, v2
	v_max_i32_e32 v9, 1, v3
	v_lshl_add_u32 v0, v0, 1, v10
                                        ; implicit-def: $vgpr5
	s_and_saveexec_b64 s[4:5], vcc
	s_cbranch_execz .LBB3_10
; %bb.3:
	s_mul_i32 s2, s11, s6
	v_add_u32_e32 v1, s2, v1
	v_mul_lo_u32 v1, s14, v1
	v_lshl_add_u32 v1, v1, 1, v10
	v_ashrrev_i32_e32 v3, 31, v1
	v_mov_b32_e32 v4, s1
	v_add_co_u32_e64 v2, s[0:1], s0, v1
	v_ashrrev_i32_e32 v1, 31, v0
	v_addc_co_u32_e64 v3, s[0:1], v4, v3, s[0:1]
	v_lshlrev_b64 v[4:5], 1, v[0:1]
	s_ashr_i32 s15, s14, 31
	v_mov_b32_e32 v1, s19
	v_add_co_u32_e64 v4, s[2:3], s18, v4
	s_lshl_b64 s[8:9], s[14:15], 1
	v_cmp_gt_i32_e64 s[0:1], s14, v10
	v_addc_co_u32_e64 v5, s[2:3], v1, v5, s[2:3]
	s_mov_b64 s[6:7], 0
	v_mov_b32_e32 v1, s9
	v_mov_b32_e32 v6, s15
	v_mov_b32_e32 v7, v9
	v_mov_b32_e32 v11, v8
	s_branch .LBB3_6
.LBB3_4:                                ;   in Loop: Header=BB3_6 Depth=1
	s_or_b64 exec, exec, s[18:19]
.LBB3_5:                                ;   in Loop: Header=BB3_6 Depth=1
	s_or_b64 exec, exec, s[10:11]
	v_add_co_u32_e64 v4, s[2:3], s8, v4
	v_add_u32_e32 v7, -1, v7
	v_addc_co_u32_e64 v5, s[2:3], v5, v1, s[2:3]
	v_cmp_eq_u32_e64 s[2:3], 0, v7
	s_or_b64 s[6:7], s[2:3], s[6:7]
	v_add_co_u32_e64 v2, s[2:3], s14, v2
	ds_write_b32 v11, v12
	v_add_u32_e32 v11, 4, v11
	v_addc_co_u32_e64 v3, s[2:3], v3, v6, s[2:3]
	s_andn2_b64 exec, exec, s[6:7]
	s_cbranch_execz .LBB3_9
.LBB3_6:                                ; =>This Inner Loop Header: Depth=1
	v_mov_b32_e32 v12, 0xff800000
	s_and_saveexec_b64 s[10:11], s[0:1]
	s_cbranch_execz .LBB3_5
; %bb.7:                                ;   in Loop: Header=BB3_6 Depth=1
	global_load_ubyte v12, v[2:3], off
	s_waitcnt vmcnt(0)
	v_cmp_ne_u16_e64 s[2:3], 1, v12
	v_mov_b32_e32 v12, 0xc61c4000
	s_and_saveexec_b64 s[18:19], s[2:3]
	s_cbranch_execz .LBB3_4
; %bb.8:                                ;   in Loop: Header=BB3_6 Depth=1
	global_load_ushort v12, v[4:5], off
	s_waitcnt vmcnt(0)
	v_cvt_f32_f16_e32 v12, v12
	v_mul_f32_e32 v12, s12, v12
	s_branch .LBB3_4
.LBB3_9:
	s_or_b64 exec, exec, s[6:7]
	ds_read2_b32 v[4:5], v8 offset1:1
.LBB3_10:
	s_or_b64 exec, exec, s[4:5]
	v_mbcnt_lo_u32_b32 v1, -1, 0
	v_mbcnt_hi_u32_b32 v1, -1, v1
	v_and_b32_e32 v2, 0x78, v1
	v_add_u32_e32 v2, 8, v2
	v_xor_b32_e32 v3, 4, v1
	v_cmp_lt_i32_e64 s[0:1], v3, v2
	v_cndmask_b32_e64 v3, v1, v3, s[0:1]
	v_lshlrev_b32_e32 v6, 2, v3
	s_waitcnt lgkmcnt(0)
	ds_bpermute_b32 v7, v6, v5
	ds_bpermute_b32 v3, v6, v4
	v_xor_b32_e32 v11, 2, v1
	v_cmp_lt_i32_e64 s[0:1], v11, v2
	v_xor_b32_e32 v12, 1, v1
	v_cndmask_b32_e64 v11, v1, v11, s[0:1]
	v_cmp_lt_i32_e64 s[0:1], v12, v2
	v_cndmask_b32_e64 v1, v1, v12, s[0:1]
	s_waitcnt lgkmcnt(1)
	v_cmp_lt_f32_e64 s[0:1], v5, v7
	v_lshlrev_b32_e32 v11, 2, v11
	v_cndmask_b32_e64 v2, v5, v7, s[0:1]
	s_waitcnt lgkmcnt(0)
	v_cmp_lt_f32_e64 s[0:1], v4, v3
	ds_bpermute_b32 v7, v11, v2
	v_cndmask_b32_e64 v3, v4, v3, s[0:1]
	ds_bpermute_b32 v12, v11, v3
	v_lshlrev_b32_e32 v1, 2, v1
	s_mov_b32 s2, 0x3fb8aa3b
	s_waitcnt lgkmcnt(1)
	v_cmp_lt_f32_e64 s[0:1], v2, v7
	v_cndmask_b32_e64 v2, v2, v7, s[0:1]
	s_waitcnt lgkmcnt(0)
	v_cmp_lt_f32_e64 s[0:1], v3, v12
	ds_bpermute_b32 v7, v1, v2
	v_cndmask_b32_e64 v12, v3, v12, s[0:1]
	ds_bpermute_b32 v13, v1, v12
	s_mov_b32 s3, 0xc2ce8ed0
	s_mov_b32 s4, 0x42b17218
	s_waitcnt lgkmcnt(1)
	v_cmp_lt_f32_e64 s[0:1], v2, v7
	v_cndmask_b32_e64 v3, v2, v7, s[0:1]
	s_waitcnt lgkmcnt(0)
	v_cmp_lt_f32_e64 s[0:1], v12, v13
	v_cndmask_b32_e64 v2, v12, v13, s[0:1]
	v_pk_add_f32 v[4:5], v[4:5], v[2:3] neg_lo:[0,1] neg_hi:[0,1]
	v_mul_f32_e32 v7, 0x3fb8aa3b, v5
	v_fma_f32 v12, v5, s2, -v7
	v_rndne_f32_e32 v13, v7
	v_fmac_f32_e32 v12, 0x32a5705f, v5
	v_sub_f32_e32 v7, v7, v13
	v_add_f32_e32 v7, v7, v12
	v_exp_f32_e32 v7, v7
	v_cvt_i32_f32_e32 v12, v13
	v_cmp_ngt_f32_e64 s[0:1], s3, v5
	v_mov_b32_e32 v15, 0x7f800000
	v_ldexp_f32 v7, v7, v12
	v_mul_f32_e32 v12, 0x3fb8aa3b, v4
	v_fma_f32 v13, v4, s2, -v12
	v_rndne_f32_e32 v14, v12
	v_fmac_f32_e32 v13, 0x32a5705f, v4
	v_sub_f32_e32 v12, v12, v14
	v_add_f32_e32 v12, v12, v13
	v_exp_f32_e32 v12, v12
	v_cvt_i32_f32_e32 v14, v14
	v_cndmask_b32_e64 v7, 0, v7, s[0:1]
	v_cmp_nlt_f32_e64 s[0:1], s4, v5
	v_cndmask_b32_e64 v13, v15, v7, s[0:1]
	v_ldexp_f32 v5, v12, v14
	v_cmp_ngt_f32_e64 s[0:1], s3, v4
	v_cndmask_b32_e64 v5, 0, v5, s[0:1]
	v_cmp_nlt_f32_e64 s[0:1], s4, v4
	v_cndmask_b32_e64 v12, v15, v5, s[0:1]
	ds_bpermute_b32 v4, v6, v12
	ds_bpermute_b32 v5, v6, v13
	ds_write2_b32 v8, v12, v13 offset1:1
	s_waitcnt lgkmcnt(1)
	v_pk_add_f32 v[4:5], v[12:13], v[4:5]
	ds_bpermute_b32 v6, v11, v4
	ds_bpermute_b32 v7, v11, v5
	s_waitcnt lgkmcnt(0)
	v_pk_add_f32 v[4:5], v[4:5], v[6:7]
	ds_bpermute_b32 v6, v1, v4
	ds_bpermute_b32 v7, v1, v5
	s_and_saveexec_b64 s[0:1], vcc
	s_cbranch_execz .LBB3_17
; %bb.11:
	s_mov_b32 s0, 0xc61c4000
	v_cmp_eq_f32_e32 vcc, s0, v2
	v_ashrrev_i32_e32 v1, 31, v0
	v_cndmask_b32_e64 v2, 1.0, 0, vcc
	v_cmp_eq_f32_e32 vcc, s0, v3
	v_lshlrev_b64 v[0:1], 1, v[0:1]
	v_cndmask_b32_e64 v3, 1.0, 0, vcc
	s_waitcnt lgkmcnt(0)
	v_pk_add_f32 v[4:5], v[4:5], v[6:7]
	v_mov_b32_e32 v6, s17
	v_add_co_u32_e32 v0, vcc, s16, v0
	s_ashr_i32 s15, s14, 31
	v_cmp_gt_i32_e64 s[0:1], s14, v10
	v_addc_co_u32_e32 v1, vcc, v6, v1, vcc
	s_lshl_b64 s[2:3], s[14:15], 1
	s_mov_b64 s[4:5], 0
	s_mov_b64 s[6:7], 0
	s_branch .LBB3_14
.LBB3_12:                               ;   in Loop: Header=BB3_14 Depth=1
	s_or_b64 exec, exec, s[10:11]
	global_store_short v[0:1], v6, off
.LBB3_13:                               ;   in Loop: Header=BB3_14 Depth=1
	s_or_b64 exec, exec, s[8:9]
	v_mov_b32_e32 v6, s3
	v_add_co_u32_e32 v0, vcc, s2, v0
	s_add_u32 s6, s6, 1
	v_addc_co_u32_e32 v1, vcc, v1, v6, vcc
	s_addc_u32 s7, s7, 0
	v_cmp_eq_u32_e32 vcc, s6, v9
	s_or_b64 s[4:5], vcc, s[4:5]
	v_add_u32_e32 v8, 4, v8
	s_andn2_b64 exec, exec, s[4:5]
	s_cbranch_execz .LBB3_17
.LBB3_14:                               ; =>This Inner Loop Header: Depth=1
	s_and_saveexec_b64 s[8:9], s[0:1]
	s_cbranch_execz .LBB3_13
; %bb.15:                               ;   in Loop: Header=BB3_14 Depth=1
	s_cmp_eq_u32 s6, 1
	s_cselect_b64 vcc, -1, 0
	v_cndmask_b32_e32 v6, v2, v3, vcc
	v_cmp_neq_f32_e32 vcc, 0, v6
	v_mov_b32_e32 v6, 0
	s_and_saveexec_b64 s[10:11], vcc
	s_cbranch_execz .LBB3_12
; %bb.16:                               ;   in Loop: Header=BB3_14 Depth=1
	ds_read_b32 v6, v8
	s_cmp_eq_u32 s6, 1
	s_cselect_b64 vcc, -1, 0
	v_cndmask_b32_e32 v7, v4, v5, vcc
	s_waitcnt lgkmcnt(0)
	v_div_scale_f32 v10, s[12:13], v7, v7, v6
	v_rcp_f32_e32 v11, v10
	v_div_scale_f32 v12, vcc, v6, v7, v6
	v_fma_f32 v13, -v10, v11, 1.0
	v_fmac_f32_e32 v11, v13, v11
	v_mul_f32_e32 v13, v12, v11
	v_fma_f32 v14, -v10, v13, v12
	v_fmac_f32_e32 v13, v14, v11
	v_fma_f32 v10, -v10, v13, v12
	v_div_fmas_f32 v10, v10, v11, v13
	v_div_fixup_f32 v6, v10, v7, v6
	v_cvt_f16_f32_e32 v6, v6
	s_branch .LBB3_12
.LBB3_17:
	s_endpgm
	.section	.rodata,"a",@progbits
	.p2align	6, 0x0
	.amdhsa_kernel _Z34scaled_masked_softmax_warp_forwardI6__halfS0_fLi3EEvPT0_PKT_PKhT1_iii
		.amdhsa_group_segment_fixed_size 8192
		.amdhsa_private_segment_fixed_size 0
		.amdhsa_kernarg_size 296
		.amdhsa_user_sgpr_count 8
		.amdhsa_user_sgpr_private_segment_buffer 1
		.amdhsa_user_sgpr_dispatch_ptr 1
		.amdhsa_user_sgpr_queue_ptr 0
		.amdhsa_user_sgpr_kernarg_segment_ptr 1
		.amdhsa_user_sgpr_dispatch_id 0
		.amdhsa_user_sgpr_flat_scratch_init 0
		.amdhsa_user_sgpr_kernarg_preload_length 0
		.amdhsa_user_sgpr_kernarg_preload_offset 0
		.amdhsa_user_sgpr_private_segment_size 0
		.amdhsa_uses_dynamic_stack 0
		.amdhsa_system_sgpr_private_segment_wavefront_offset 0
		.amdhsa_system_sgpr_workgroup_id_x 1
		.amdhsa_system_sgpr_workgroup_id_y 1
		.amdhsa_system_sgpr_workgroup_id_z 1
		.amdhsa_system_sgpr_workgroup_info 0
		.amdhsa_system_vgpr_workitem_id 2
		.amdhsa_next_free_vgpr 16
		.amdhsa_next_free_sgpr 24
		.amdhsa_accum_offset 16
		.amdhsa_reserve_vcc 1
		.amdhsa_reserve_flat_scratch 0
		.amdhsa_float_round_mode_32 0
		.amdhsa_float_round_mode_16_64 0
		.amdhsa_float_denorm_mode_32 3
		.amdhsa_float_denorm_mode_16_64 3
		.amdhsa_dx10_clamp 1
		.amdhsa_ieee_mode 1
		.amdhsa_fp16_overflow 0
		.amdhsa_tg_split 0
		.amdhsa_exception_fp_ieee_invalid_op 0
		.amdhsa_exception_fp_denorm_src 0
		.amdhsa_exception_fp_ieee_div_zero 0
		.amdhsa_exception_fp_ieee_overflow 0
		.amdhsa_exception_fp_ieee_underflow 0
		.amdhsa_exception_fp_ieee_inexact 0
		.amdhsa_exception_int_div_zero 0
	.end_amdhsa_kernel
	.section	.text._Z34scaled_masked_softmax_warp_forwardI6__halfS0_fLi3EEvPT0_PKT_PKhT1_iii,"axG",@progbits,_Z34scaled_masked_softmax_warp_forwardI6__halfS0_fLi3EEvPT0_PKT_PKhT1_iii,comdat
.Lfunc_end3:
	.size	_Z34scaled_masked_softmax_warp_forwardI6__halfS0_fLi3EEvPT0_PKT_PKhT1_iii, .Lfunc_end3-_Z34scaled_masked_softmax_warp_forwardI6__halfS0_fLi3EEvPT0_PKT_PKhT1_iii
                                        ; -- End function
	.section	.AMDGPU.csdata,"",@progbits
; Kernel info:
; codeLenInByte = 1364
; NumSgprs: 28
; NumVgprs: 16
; NumAgprs: 0
; TotalNumVgprs: 16
; ScratchSize: 0
; MemoryBound: 0
; FloatMode: 240
; IeeeMode: 1
; LDSByteSize: 8192 bytes/workgroup (compile time only)
; SGPRBlocks: 3
; VGPRBlocks: 1
; NumSGPRsForWavesPerEU: 28
; NumVGPRsForWavesPerEU: 16
; AccumOffset: 16
; Occupancy: 8
; WaveLimiterHint : 0
; COMPUTE_PGM_RSRC2:SCRATCH_EN: 0
; COMPUTE_PGM_RSRC2:USER_SGPR: 8
; COMPUTE_PGM_RSRC2:TRAP_HANDLER: 0
; COMPUTE_PGM_RSRC2:TGID_X_EN: 1
; COMPUTE_PGM_RSRC2:TGID_Y_EN: 1
; COMPUTE_PGM_RSRC2:TGID_Z_EN: 1
; COMPUTE_PGM_RSRC2:TIDIG_COMP_CNT: 2
; COMPUTE_PGM_RSRC3_GFX90A:ACCUM_OFFSET: 3
; COMPUTE_PGM_RSRC3_GFX90A:TG_SPLIT: 0
	.section	.text._Z34scaled_masked_softmax_warp_forwardI6__halfS0_fLi4EEvPT0_PKT_PKhT1_iii,"axG",@progbits,_Z34scaled_masked_softmax_warp_forwardI6__halfS0_fLi4EEvPT0_PKT_PKhT1_iii,comdat
	.protected	_Z34scaled_masked_softmax_warp_forwardI6__halfS0_fLi4EEvPT0_PKT_PKhT1_iii ; -- Begin function _Z34scaled_masked_softmax_warp_forwardI6__halfS0_fLi4EEvPT0_PKT_PKhT1_iii
	.globl	_Z34scaled_masked_softmax_warp_forwardI6__halfS0_fLi4EEvPT0_PKT_PKhT1_iii
	.p2align	8
	.type	_Z34scaled_masked_softmax_warp_forwardI6__halfS0_fLi4EEvPT0_PKT_PKhT1_iii,@function
_Z34scaled_masked_softmax_warp_forwardI6__halfS0_fLi4EEvPT0_PKT_PKhT1_iii: ; @_Z34scaled_masked_softmax_warp_forwardI6__halfS0_fLi4EEvPT0_PKT_PKhT1_iii
; %bb.0:
	s_load_dword s0, s[6:7], 0x34
	s_load_dwordx4 s[12:15], s[6:7], 0x18
	s_load_dwordx2 s[2:3], s[6:7], 0x28
	s_mov_b32 s11, s8
	s_waitcnt lgkmcnt(0)
	s_lshr_b32 s20, s0, 16
	s_cmp_eq_u32 s15, 1
	s_cbranch_scc1 .LBB4_2
; %bb.1:
	s_mul_i32 s0, s2, s10
	s_add_i32 s11, s0, s8
.LBB4_2:
	s_load_dwordx2 s[22:23], s[4:5], 0x4
	s_load_dwordx4 s[16:19], s[6:7], 0x0
	s_load_dwordx2 s[0:1], s[6:7], 0x10
	s_mul_i32 s3, s3, s10
	s_add_i32 s3, s3, s9
	s_waitcnt lgkmcnt(0)
	s_lshr_b32 s4, s22, 16
	v_and_b32_e32 v12, 0x3ff, v0
	s_mul_i32 s4, s4, s23
	s_mul_i32 s2, s2, s3
	v_bfe_u32 v1, v0, 10, 10
	v_mul_lo_u32 v2, s4, v12
	s_and_b32 s6, 0xffff, s20
	s_add_i32 s2, s2, s8
	v_mad_u32_u24 v2, v1, s23, v2
	v_bfe_u32 v0, v0, 20, 10
	s_mul_i32 s2, s2, s6
	v_add_lshl_u32 v10, v2, v0, 3
	v_add_u32_e32 v0, s2, v1
	v_lshlrev_b32_e32 v2, 1, v0
	v_sub_u32_e32 v2, s13, v2
	v_min_i32_e32 v3, 2, v2
	v_mul_lo_u32 v0, s14, v0
	v_cmp_lt_i32_e32 vcc, 0, v2
	v_max_i32_e32 v11, 1, v3
	v_lshl_add_u32 v0, v0, 1, v12
                                        ; implicit-def: $vgpr3
	s_and_saveexec_b64 s[4:5], vcc
	s_cbranch_execz .LBB4_10
; %bb.3:
	s_mul_i32 s2, s11, s6
	v_add_u32_e32 v1, s2, v1
	v_mul_lo_u32 v1, s14, v1
	v_lshl_add_u32 v1, v1, 1, v12
	v_ashrrev_i32_e32 v3, 31, v1
	v_mov_b32_e32 v4, s1
	v_add_co_u32_e64 v2, s[0:1], s0, v1
	v_ashrrev_i32_e32 v1, 31, v0
	v_addc_co_u32_e64 v3, s[0:1], v4, v3, s[0:1]
	v_lshlrev_b64 v[4:5], 1, v[0:1]
	s_ashr_i32 s15, s14, 31
	v_mov_b32_e32 v1, s19
	v_add_co_u32_e64 v4, s[2:3], s18, v4
	s_lshl_b64 s[8:9], s[14:15], 1
	v_cmp_gt_i32_e64 s[0:1], s14, v12
	v_addc_co_u32_e64 v5, s[2:3], v1, v5, s[2:3]
	s_mov_b64 s[6:7], 0
	v_mov_b32_e32 v1, s9
	v_mov_b32_e32 v6, s15
	;; [unrolled: 1-line block ×4, first 2 shown]
	s_branch .LBB4_6
.LBB4_4:                                ;   in Loop: Header=BB4_6 Depth=1
	s_or_b64 exec, exec, s[18:19]
.LBB4_5:                                ;   in Loop: Header=BB4_6 Depth=1
	s_or_b64 exec, exec, s[10:11]
	v_add_co_u32_e64 v4, s[2:3], s8, v4
	v_add_u32_e32 v7, -1, v7
	v_addc_co_u32_e64 v5, s[2:3], v5, v1, s[2:3]
	v_cmp_eq_u32_e64 s[2:3], 0, v7
	s_or_b64 s[6:7], s[2:3], s[6:7]
	v_add_co_u32_e64 v2, s[2:3], s14, v2
	ds_write_b32 v8, v9
	v_add_u32_e32 v8, 4, v8
	v_addc_co_u32_e64 v3, s[2:3], v3, v6, s[2:3]
	s_andn2_b64 exec, exec, s[6:7]
	s_cbranch_execz .LBB4_9
.LBB4_6:                                ; =>This Inner Loop Header: Depth=1
	v_mov_b32_e32 v9, 0xff800000
	s_and_saveexec_b64 s[10:11], s[0:1]
	s_cbranch_execz .LBB4_5
; %bb.7:                                ;   in Loop: Header=BB4_6 Depth=1
	global_load_ubyte v9, v[2:3], off
	s_waitcnt vmcnt(0)
	v_cmp_ne_u16_e64 s[2:3], 1, v9
	v_mov_b32_e32 v9, 0xc61c4000
	s_and_saveexec_b64 s[18:19], s[2:3]
	s_cbranch_execz .LBB4_4
; %bb.8:                                ;   in Loop: Header=BB4_6 Depth=1
	global_load_ushort v9, v[4:5], off
	s_waitcnt vmcnt(0)
	v_cvt_f32_f16_e32 v9, v9
	v_mul_f32_e32 v9, s12, v9
	s_branch .LBB4_4
.LBB4_9:
	s_or_b64 exec, exec, s[6:7]
	ds_read2_b32 v[2:3], v10 offset1:1
.LBB4_10:
	s_or_b64 exec, exec, s[4:5]
	v_mbcnt_lo_u32_b32 v1, -1, 0
	v_mbcnt_hi_u32_b32 v1, -1, v1
	v_and_b32_e32 v4, 0x70, v1
	v_add_u32_e32 v4, 16, v4
	v_xor_b32_e32 v5, 8, v1
	v_cmp_lt_i32_e64 s[0:1], v5, v4
	v_cndmask_b32_e64 v5, v1, v5, s[0:1]
	v_lshlrev_b32_e32 v7, 2, v5
	s_waitcnt lgkmcnt(0)
	ds_bpermute_b32 v6, v7, v3
	v_xor_b32_e32 v8, 4, v1
	ds_bpermute_b32 v5, v7, v2
	v_cmp_lt_i32_e64 s[0:1], v8, v4
	v_cndmask_b32_e64 v8, v1, v8, s[0:1]
	v_lshlrev_b32_e32 v9, 2, v8
	v_xor_b32_e32 v8, 2, v1
	v_cmp_lt_i32_e64 s[0:1], v8, v4
	v_cndmask_b32_e64 v8, v1, v8, s[0:1]
	s_waitcnt lgkmcnt(1)
	v_cmp_lt_f32_e64 s[0:1], v3, v6
	v_cndmask_b32_e64 v6, v3, v6, s[0:1]
	s_waitcnt lgkmcnt(0)
	v_cmp_lt_f32_e64 s[0:1], v2, v5
	ds_bpermute_b32 v14, v9, v6
	v_cndmask_b32_e64 v5, v2, v5, s[0:1]
	ds_bpermute_b32 v15, v9, v5
	v_lshlrev_b32_e32 v13, 2, v8
	v_xor_b32_e32 v8, 1, v1
	v_cmp_lt_i32_e64 s[0:1], v8, v4
	v_cndmask_b32_e64 v1, v1, v8, s[0:1]
	s_waitcnt lgkmcnt(1)
	v_cmp_lt_f32_e64 s[0:1], v6, v14
	v_cndmask_b32_e64 v4, v6, v14, s[0:1]
	s_waitcnt lgkmcnt(0)
	v_cmp_lt_f32_e64 s[0:1], v5, v15
	ds_bpermute_b32 v6, v13, v4
	v_cndmask_b32_e64 v5, v5, v15, s[0:1]
	ds_bpermute_b32 v8, v13, v5
	v_lshlrev_b32_e32 v1, 2, v1
	s_mov_b32 s2, 0x3fb8aa3b
	s_waitcnt lgkmcnt(1)
	v_cmp_lt_f32_e64 s[0:1], v4, v6
	v_cndmask_b32_e64 v4, v4, v6, s[0:1]
	s_waitcnt lgkmcnt(0)
	v_cmp_lt_f32_e64 s[0:1], v5, v8
	ds_bpermute_b32 v6, v1, v4
	v_cndmask_b32_e64 v8, v5, v8, s[0:1]
	ds_bpermute_b32 v14, v1, v8
	s_mov_b32 s3, 0xc2ce8ed0
	s_mov_b32 s4, 0x42b17218
	s_waitcnt lgkmcnt(1)
	v_cmp_lt_f32_e64 s[0:1], v4, v6
	v_cndmask_b32_e64 v5, v4, v6, s[0:1]
	s_waitcnt lgkmcnt(0)
	v_cmp_lt_f32_e64 s[0:1], v8, v14
	v_cndmask_b32_e64 v4, v8, v14, s[0:1]
	v_pk_add_f32 v[2:3], v[2:3], v[4:5] neg_lo:[0,1] neg_hi:[0,1]
	v_mul_f32_e32 v6, 0x3fb8aa3b, v3
	v_fma_f32 v8, v3, s2, -v6
	v_rndne_f32_e32 v14, v6
	v_fmac_f32_e32 v8, 0x32a5705f, v3
	v_sub_f32_e32 v6, v6, v14
	v_add_f32_e32 v6, v6, v8
	v_exp_f32_e32 v6, v6
	v_cvt_i32_f32_e32 v8, v14
	v_cmp_ngt_f32_e64 s[0:1], s3, v3
	v_ldexp_f32 v6, v6, v8
	v_mul_f32_e32 v8, 0x3fb8aa3b, v2
	v_fma_f32 v14, v2, s2, -v8
	v_rndne_f32_e32 v15, v8
	v_fmac_f32_e32 v14, 0x32a5705f, v2
	v_sub_f32_e32 v8, v8, v15
	v_add_f32_e32 v8, v8, v14
	v_exp_f32_e32 v8, v8
	v_cvt_i32_f32_e32 v14, v15
	v_cndmask_b32_e64 v6, 0, v6, s[0:1]
	v_mov_b32_e32 v15, 0x7f800000
	v_cmp_nlt_f32_e64 s[0:1], s4, v3
	v_cndmask_b32_e64 v3, v15, v6, s[0:1]
	v_ldexp_f32 v6, v8, v14
	v_cmp_ngt_f32_e64 s[0:1], s3, v2
	v_cndmask_b32_e64 v6, 0, v6, s[0:1]
	v_cmp_nlt_f32_e64 s[0:1], s4, v2
	v_cndmask_b32_e64 v2, v15, v6, s[0:1]
	ds_bpermute_b32 v6, v7, v2
	ds_bpermute_b32 v7, v7, v3
	ds_write2_b32 v10, v2, v3 offset1:1
	s_waitcnt lgkmcnt(1)
	v_pk_add_f32 v[6:7], v[2:3], v[6:7]
	ds_bpermute_b32 v8, v9, v6
	ds_bpermute_b32 v9, v9, v7
	s_waitcnt lgkmcnt(0)
	v_pk_add_f32 v[6:7], v[6:7], v[8:9]
	ds_bpermute_b32 v8, v13, v6
	ds_bpermute_b32 v9, v13, v7
	;; [unrolled: 4-line block ×3, first 2 shown]
	s_and_saveexec_b64 s[0:1], vcc
	s_cbranch_execz .LBB4_17
; %bb.11:
	s_mov_b32 s0, 0xc61c4000
	v_cmp_eq_f32_e32 vcc, s0, v4
	v_ashrrev_i32_e32 v1, 31, v0
	v_cndmask_b32_e64 v2, 1.0, 0, vcc
	v_cmp_eq_f32_e32 vcc, s0, v5
	v_lshlrev_b64 v[0:1], 1, v[0:1]
	v_cndmask_b32_e64 v3, 1.0, 0, vcc
	s_waitcnt lgkmcnt(0)
	v_pk_add_f32 v[4:5], v[6:7], v[8:9]
	v_mov_b32_e32 v6, s17
	v_add_co_u32_e32 v0, vcc, s16, v0
	s_ashr_i32 s15, s14, 31
	v_cmp_gt_i32_e64 s[0:1], s14, v12
	v_addc_co_u32_e32 v1, vcc, v6, v1, vcc
	s_lshl_b64 s[2:3], s[14:15], 1
	s_mov_b64 s[4:5], 0
	s_mov_b64 s[6:7], 0
	s_branch .LBB4_14
.LBB4_12:                               ;   in Loop: Header=BB4_14 Depth=1
	s_or_b64 exec, exec, s[10:11]
	global_store_short v[0:1], v6, off
.LBB4_13:                               ;   in Loop: Header=BB4_14 Depth=1
	s_or_b64 exec, exec, s[8:9]
	v_mov_b32_e32 v6, s3
	v_add_co_u32_e32 v0, vcc, s2, v0
	s_add_u32 s6, s6, 1
	v_addc_co_u32_e32 v1, vcc, v1, v6, vcc
	s_addc_u32 s7, s7, 0
	v_cmp_eq_u32_e32 vcc, s6, v11
	s_or_b64 s[4:5], vcc, s[4:5]
	v_add_u32_e32 v10, 4, v10
	s_andn2_b64 exec, exec, s[4:5]
	s_cbranch_execz .LBB4_17
.LBB4_14:                               ; =>This Inner Loop Header: Depth=1
	s_and_saveexec_b64 s[8:9], s[0:1]
	s_cbranch_execz .LBB4_13
; %bb.15:                               ;   in Loop: Header=BB4_14 Depth=1
	s_cmp_eq_u32 s6, 1
	s_cselect_b64 vcc, -1, 0
	v_cndmask_b32_e32 v6, v2, v3, vcc
	v_cmp_neq_f32_e32 vcc, 0, v6
	v_mov_b32_e32 v6, 0
	s_and_saveexec_b64 s[10:11], vcc
	s_cbranch_execz .LBB4_12
; %bb.16:                               ;   in Loop: Header=BB4_14 Depth=1
	ds_read_b32 v6, v10
	s_cmp_eq_u32 s6, 1
	s_cselect_b64 vcc, -1, 0
	v_cndmask_b32_e32 v7, v4, v5, vcc
	s_waitcnt lgkmcnt(0)
	v_div_scale_f32 v8, s[12:13], v7, v7, v6
	v_rcp_f32_e32 v9, v8
	v_div_scale_f32 v12, vcc, v6, v7, v6
	v_fma_f32 v13, -v8, v9, 1.0
	v_fmac_f32_e32 v9, v13, v9
	v_mul_f32_e32 v13, v12, v9
	v_fma_f32 v14, -v8, v13, v12
	v_fmac_f32_e32 v13, v14, v9
	v_fma_f32 v8, -v8, v13, v12
	v_div_fmas_f32 v8, v8, v9, v13
	v_div_fixup_f32 v6, v8, v7, v6
	v_cvt_f16_f32_e32 v6, v6
	s_branch .LBB4_12
.LBB4_17:
	s_endpgm
	.section	.rodata,"a",@progbits
	.p2align	6, 0x0
	.amdhsa_kernel _Z34scaled_masked_softmax_warp_forwardI6__halfS0_fLi4EEvPT0_PKT_PKhT1_iii
		.amdhsa_group_segment_fixed_size 8192
		.amdhsa_private_segment_fixed_size 0
		.amdhsa_kernarg_size 296
		.amdhsa_user_sgpr_count 8
		.amdhsa_user_sgpr_private_segment_buffer 1
		.amdhsa_user_sgpr_dispatch_ptr 1
		.amdhsa_user_sgpr_queue_ptr 0
		.amdhsa_user_sgpr_kernarg_segment_ptr 1
		.amdhsa_user_sgpr_dispatch_id 0
		.amdhsa_user_sgpr_flat_scratch_init 0
		.amdhsa_user_sgpr_kernarg_preload_length 0
		.amdhsa_user_sgpr_kernarg_preload_offset 0
		.amdhsa_user_sgpr_private_segment_size 0
		.amdhsa_uses_dynamic_stack 0
		.amdhsa_system_sgpr_private_segment_wavefront_offset 0
		.amdhsa_system_sgpr_workgroup_id_x 1
		.amdhsa_system_sgpr_workgroup_id_y 1
		.amdhsa_system_sgpr_workgroup_id_z 1
		.amdhsa_system_sgpr_workgroup_info 0
		.amdhsa_system_vgpr_workitem_id 2
		.amdhsa_next_free_vgpr 16
		.amdhsa_next_free_sgpr 24
		.amdhsa_accum_offset 16
		.amdhsa_reserve_vcc 1
		.amdhsa_reserve_flat_scratch 0
		.amdhsa_float_round_mode_32 0
		.amdhsa_float_round_mode_16_64 0
		.amdhsa_float_denorm_mode_32 3
		.amdhsa_float_denorm_mode_16_64 3
		.amdhsa_dx10_clamp 1
		.amdhsa_ieee_mode 1
		.amdhsa_fp16_overflow 0
		.amdhsa_tg_split 0
		.amdhsa_exception_fp_ieee_invalid_op 0
		.amdhsa_exception_fp_denorm_src 0
		.amdhsa_exception_fp_ieee_div_zero 0
		.amdhsa_exception_fp_ieee_overflow 0
		.amdhsa_exception_fp_ieee_underflow 0
		.amdhsa_exception_fp_ieee_inexact 0
		.amdhsa_exception_int_div_zero 0
	.end_amdhsa_kernel
	.section	.text._Z34scaled_masked_softmax_warp_forwardI6__halfS0_fLi4EEvPT0_PKT_PKhT1_iii,"axG",@progbits,_Z34scaled_masked_softmax_warp_forwardI6__halfS0_fLi4EEvPT0_PKT_PKhT1_iii,comdat
.Lfunc_end4:
	.size	_Z34scaled_masked_softmax_warp_forwardI6__halfS0_fLi4EEvPT0_PKT_PKhT1_iii, .Lfunc_end4-_Z34scaled_masked_softmax_warp_forwardI6__halfS0_fLi4EEvPT0_PKT_PKhT1_iii
                                        ; -- End function
	.section	.AMDGPU.csdata,"",@progbits
; Kernel info:
; codeLenInByte = 1472
; NumSgprs: 28
; NumVgprs: 16
; NumAgprs: 0
; TotalNumVgprs: 16
; ScratchSize: 0
; MemoryBound: 0
; FloatMode: 240
; IeeeMode: 1
; LDSByteSize: 8192 bytes/workgroup (compile time only)
; SGPRBlocks: 3
; VGPRBlocks: 1
; NumSGPRsForWavesPerEU: 28
; NumVGPRsForWavesPerEU: 16
; AccumOffset: 16
; Occupancy: 8
; WaveLimiterHint : 0
; COMPUTE_PGM_RSRC2:SCRATCH_EN: 0
; COMPUTE_PGM_RSRC2:USER_SGPR: 8
; COMPUTE_PGM_RSRC2:TRAP_HANDLER: 0
; COMPUTE_PGM_RSRC2:TGID_X_EN: 1
; COMPUTE_PGM_RSRC2:TGID_Y_EN: 1
; COMPUTE_PGM_RSRC2:TGID_Z_EN: 1
; COMPUTE_PGM_RSRC2:TIDIG_COMP_CNT: 2
; COMPUTE_PGM_RSRC3_GFX90A:ACCUM_OFFSET: 3
; COMPUTE_PGM_RSRC3_GFX90A:TG_SPLIT: 0
	.section	.text._Z34scaled_masked_softmax_warp_forwardI6__halfS0_fLi5EEvPT0_PKT_PKhT1_iii,"axG",@progbits,_Z34scaled_masked_softmax_warp_forwardI6__halfS0_fLi5EEvPT0_PKT_PKhT1_iii,comdat
	.protected	_Z34scaled_masked_softmax_warp_forwardI6__halfS0_fLi5EEvPT0_PKT_PKhT1_iii ; -- Begin function _Z34scaled_masked_softmax_warp_forwardI6__halfS0_fLi5EEvPT0_PKT_PKhT1_iii
	.globl	_Z34scaled_masked_softmax_warp_forwardI6__halfS0_fLi5EEvPT0_PKT_PKhT1_iii
	.p2align	8
	.type	_Z34scaled_masked_softmax_warp_forwardI6__halfS0_fLi5EEvPT0_PKT_PKhT1_iii,@function
_Z34scaled_masked_softmax_warp_forwardI6__halfS0_fLi5EEvPT0_PKT_PKhT1_iii: ; @_Z34scaled_masked_softmax_warp_forwardI6__halfS0_fLi5EEvPT0_PKT_PKhT1_iii
; %bb.0:
	s_load_dword s0, s[6:7], 0x34
	s_load_dwordx4 s[12:15], s[6:7], 0x18
	s_load_dwordx2 s[2:3], s[6:7], 0x28
	s_mov_b32 s11, s8
	s_waitcnt lgkmcnt(0)
	s_lshr_b32 s20, s0, 16
	s_cmp_eq_u32 s15, 1
	s_cbranch_scc1 .LBB5_2
; %bb.1:
	s_mul_i32 s0, s2, s10
	s_add_i32 s11, s0, s8
.LBB5_2:
	s_load_dwordx2 s[22:23], s[4:5], 0x4
	s_load_dwordx4 s[16:19], s[6:7], 0x0
	s_load_dwordx2 s[0:1], s[6:7], 0x10
	s_mul_i32 s3, s3, s10
	s_add_i32 s3, s3, s9
	s_waitcnt lgkmcnt(0)
	s_lshr_b32 s4, s22, 16
	v_and_b32_e32 v12, 0x3ff, v0
	s_mul_i32 s4, s4, s23
	s_mul_i32 s2, s2, s3
	v_bfe_u32 v1, v0, 10, 10
	v_mul_lo_u32 v2, s4, v12
	s_and_b32 s6, 0xffff, s20
	s_add_i32 s2, s2, s8
	v_mad_u32_u24 v2, v1, s23, v2
	v_bfe_u32 v0, v0, 20, 10
	s_mul_i32 s2, s2, s6
	v_add_lshl_u32 v10, v2, v0, 3
	v_add_u32_e32 v0, s2, v1
	v_lshlrev_b32_e32 v2, 1, v0
	v_sub_u32_e32 v2, s13, v2
	v_min_i32_e32 v3, 2, v2
	v_mul_lo_u32 v0, s14, v0
	v_cmp_lt_i32_e32 vcc, 0, v2
	v_max_i32_e32 v11, 1, v3
	v_lshl_add_u32 v0, v0, 1, v12
                                        ; implicit-def: $vgpr3
	s_and_saveexec_b64 s[4:5], vcc
	s_cbranch_execz .LBB5_10
; %bb.3:
	s_mul_i32 s2, s11, s6
	v_add_u32_e32 v1, s2, v1
	v_mul_lo_u32 v1, s14, v1
	v_lshl_add_u32 v1, v1, 1, v12
	v_ashrrev_i32_e32 v3, 31, v1
	v_mov_b32_e32 v4, s1
	v_add_co_u32_e64 v2, s[0:1], s0, v1
	v_ashrrev_i32_e32 v1, 31, v0
	v_addc_co_u32_e64 v3, s[0:1], v4, v3, s[0:1]
	v_lshlrev_b64 v[4:5], 1, v[0:1]
	s_ashr_i32 s15, s14, 31
	v_mov_b32_e32 v1, s19
	v_add_co_u32_e64 v4, s[2:3], s18, v4
	s_lshl_b64 s[8:9], s[14:15], 1
	v_cmp_gt_i32_e64 s[0:1], s14, v12
	v_addc_co_u32_e64 v5, s[2:3], v1, v5, s[2:3]
	s_mov_b64 s[6:7], 0
	v_mov_b32_e32 v1, s9
	v_mov_b32_e32 v6, s15
	;; [unrolled: 1-line block ×4, first 2 shown]
	s_branch .LBB5_6
.LBB5_4:                                ;   in Loop: Header=BB5_6 Depth=1
	s_or_b64 exec, exec, s[18:19]
.LBB5_5:                                ;   in Loop: Header=BB5_6 Depth=1
	s_or_b64 exec, exec, s[10:11]
	v_add_co_u32_e64 v4, s[2:3], s8, v4
	v_add_u32_e32 v7, -1, v7
	v_addc_co_u32_e64 v5, s[2:3], v5, v1, s[2:3]
	v_cmp_eq_u32_e64 s[2:3], 0, v7
	s_or_b64 s[6:7], s[2:3], s[6:7]
	v_add_co_u32_e64 v2, s[2:3], s14, v2
	ds_write_b32 v8, v9
	v_add_u32_e32 v8, 4, v8
	v_addc_co_u32_e64 v3, s[2:3], v3, v6, s[2:3]
	s_andn2_b64 exec, exec, s[6:7]
	s_cbranch_execz .LBB5_9
.LBB5_6:                                ; =>This Inner Loop Header: Depth=1
	v_mov_b32_e32 v9, 0xff800000
	s_and_saveexec_b64 s[10:11], s[0:1]
	s_cbranch_execz .LBB5_5
; %bb.7:                                ;   in Loop: Header=BB5_6 Depth=1
	global_load_ubyte v9, v[2:3], off
	s_waitcnt vmcnt(0)
	v_cmp_ne_u16_e64 s[2:3], 1, v9
	v_mov_b32_e32 v9, 0xc61c4000
	s_and_saveexec_b64 s[18:19], s[2:3]
	s_cbranch_execz .LBB5_4
; %bb.8:                                ;   in Loop: Header=BB5_6 Depth=1
	global_load_ushort v9, v[4:5], off
	s_waitcnt vmcnt(0)
	v_cvt_f32_f16_e32 v9, v9
	v_mul_f32_e32 v9, s12, v9
	s_branch .LBB5_4
.LBB5_9:
	s_or_b64 exec, exec, s[6:7]
	ds_read2_b32 v[2:3], v10 offset1:1
.LBB5_10:
	s_or_b64 exec, exec, s[4:5]
	v_mbcnt_lo_u32_b32 v1, -1, 0
	v_mbcnt_hi_u32_b32 v1, -1, v1
	v_and_b32_e32 v4, 0x60, v1
	v_add_u32_e32 v4, 32, v4
	v_xor_b32_e32 v5, 16, v1
	v_cmp_lt_i32_e64 s[0:1], v5, v4
	v_xor_b32_e32 v8, 8, v1
	v_cndmask_b32_e64 v5, v1, v5, s[0:1]
	v_cmp_lt_i32_e64 s[0:1], v8, v4
	v_lshlrev_b32_e32 v7, 2, v5
	v_cndmask_b32_e64 v8, v1, v8, s[0:1]
	s_waitcnt lgkmcnt(0)
	ds_bpermute_b32 v6, v7, v3
	v_lshlrev_b32_e32 v9, 2, v8
	v_xor_b32_e32 v8, 4, v1
	ds_bpermute_b32 v5, v7, v2
	v_cmp_lt_i32_e64 s[0:1], v8, v4
	v_cndmask_b32_e64 v8, v1, v8, s[0:1]
	v_lshlrev_b32_e32 v13, 2, v8
	v_xor_b32_e32 v8, 2, v1
	v_cmp_lt_i32_e64 s[0:1], v8, v4
	v_cndmask_b32_e64 v8, v1, v8, s[0:1]
	s_waitcnt lgkmcnt(1)
	v_cmp_lt_f32_e64 s[0:1], v3, v6
	v_cndmask_b32_e64 v6, v3, v6, s[0:1]
	s_waitcnt lgkmcnt(0)
	v_cmp_lt_f32_e64 s[0:1], v2, v5
	v_lshlrev_b32_e32 v14, 2, v8
	ds_bpermute_b32 v8, v9, v6
	v_cndmask_b32_e64 v5, v2, v5, s[0:1]
	ds_bpermute_b32 v15, v9, v5
	v_xor_b32_e32 v16, 1, v1
	s_mov_b32 s2, 0x3fb8aa3b
	s_waitcnt lgkmcnt(1)
	v_cmp_lt_f32_e64 s[0:1], v6, v8
	v_cndmask_b32_e64 v6, v6, v8, s[0:1]
	s_waitcnt lgkmcnt(0)
	v_cmp_lt_f32_e64 s[0:1], v5, v15
	ds_bpermute_b32 v8, v13, v6
	v_cndmask_b32_e64 v5, v5, v15, s[0:1]
	ds_bpermute_b32 v15, v13, v5
	v_cmp_lt_i32_e64 s[0:1], v16, v4
	v_cndmask_b32_e64 v1, v1, v16, s[0:1]
	s_waitcnt lgkmcnt(1)
	v_cmp_lt_f32_e64 s[0:1], v6, v8
	v_cndmask_b32_e64 v4, v6, v8, s[0:1]
	s_waitcnt lgkmcnt(0)
	v_cmp_lt_f32_e64 s[0:1], v5, v15
	ds_bpermute_b32 v6, v14, v4
	v_cndmask_b32_e64 v5, v5, v15, s[0:1]
	ds_bpermute_b32 v8, v14, v5
	v_lshlrev_b32_e32 v1, 2, v1
	s_mov_b32 s3, 0xc2ce8ed0
	s_waitcnt lgkmcnt(1)
	v_cmp_lt_f32_e64 s[0:1], v4, v6
	v_cndmask_b32_e64 v4, v4, v6, s[0:1]
	s_waitcnt lgkmcnt(0)
	v_cmp_lt_f32_e64 s[0:1], v5, v8
	ds_bpermute_b32 v6, v1, v4
	v_cndmask_b32_e64 v8, v5, v8, s[0:1]
	ds_bpermute_b32 v15, v1, v8
	s_mov_b32 s4, 0x42b17218
	s_waitcnt lgkmcnt(1)
	v_cmp_lt_f32_e64 s[0:1], v4, v6
	v_cndmask_b32_e64 v5, v4, v6, s[0:1]
	s_waitcnt lgkmcnt(0)
	v_cmp_lt_f32_e64 s[0:1], v8, v15
	v_cndmask_b32_e64 v4, v8, v15, s[0:1]
	v_pk_add_f32 v[2:3], v[2:3], v[4:5] neg_lo:[0,1] neg_hi:[0,1]
	v_mul_f32_e32 v6, 0x3fb8aa3b, v3
	v_fma_f32 v8, v3, s2, -v6
	v_rndne_f32_e32 v15, v6
	v_fmac_f32_e32 v8, 0x32a5705f, v3
	v_sub_f32_e32 v6, v6, v15
	v_add_f32_e32 v6, v6, v8
	v_exp_f32_e32 v6, v6
	v_cvt_i32_f32_e32 v8, v15
	v_cmp_ngt_f32_e64 s[0:1], s3, v3
	v_ldexp_f32 v6, v6, v8
	v_mul_f32_e32 v8, 0x3fb8aa3b, v2
	v_fma_f32 v15, v2, s2, -v8
	v_rndne_f32_e32 v16, v8
	v_fmac_f32_e32 v15, 0x32a5705f, v2
	v_sub_f32_e32 v8, v8, v16
	v_add_f32_e32 v8, v8, v15
	v_exp_f32_e32 v8, v8
	v_cvt_i32_f32_e32 v15, v16
	v_cndmask_b32_e64 v6, 0, v6, s[0:1]
	v_mov_b32_e32 v16, 0x7f800000
	v_cmp_nlt_f32_e64 s[0:1], s4, v3
	v_cndmask_b32_e64 v3, v16, v6, s[0:1]
	v_ldexp_f32 v6, v8, v15
	v_cmp_ngt_f32_e64 s[0:1], s3, v2
	v_cndmask_b32_e64 v6, 0, v6, s[0:1]
	v_cmp_nlt_f32_e64 s[0:1], s4, v2
	v_cndmask_b32_e64 v2, v16, v6, s[0:1]
	ds_bpermute_b32 v6, v7, v2
	ds_bpermute_b32 v7, v7, v3
	ds_write2_b32 v10, v2, v3 offset1:1
	s_waitcnt lgkmcnt(1)
	v_pk_add_f32 v[6:7], v[2:3], v[6:7]
	ds_bpermute_b32 v8, v9, v6
	ds_bpermute_b32 v9, v9, v7
	s_waitcnt lgkmcnt(0)
	v_pk_add_f32 v[6:7], v[6:7], v[8:9]
	ds_bpermute_b32 v8, v13, v6
	ds_bpermute_b32 v9, v13, v7
	;; [unrolled: 4-line block ×4, first 2 shown]
	s_and_saveexec_b64 s[0:1], vcc
	s_cbranch_execz .LBB5_17
; %bb.11:
	s_mov_b32 s0, 0xc61c4000
	v_cmp_eq_f32_e32 vcc, s0, v4
	v_ashrrev_i32_e32 v1, 31, v0
	v_cndmask_b32_e64 v2, 1.0, 0, vcc
	v_cmp_eq_f32_e32 vcc, s0, v5
	v_lshlrev_b64 v[0:1], 1, v[0:1]
	v_cndmask_b32_e64 v3, 1.0, 0, vcc
	s_waitcnt lgkmcnt(0)
	v_pk_add_f32 v[4:5], v[6:7], v[8:9]
	v_mov_b32_e32 v6, s17
	v_add_co_u32_e32 v0, vcc, s16, v0
	s_ashr_i32 s15, s14, 31
	v_cmp_gt_i32_e64 s[0:1], s14, v12
	v_addc_co_u32_e32 v1, vcc, v6, v1, vcc
	s_lshl_b64 s[2:3], s[14:15], 1
	s_mov_b64 s[4:5], 0
	s_mov_b64 s[6:7], 0
	s_branch .LBB5_14
.LBB5_12:                               ;   in Loop: Header=BB5_14 Depth=1
	s_or_b64 exec, exec, s[10:11]
	global_store_short v[0:1], v6, off
.LBB5_13:                               ;   in Loop: Header=BB5_14 Depth=1
	s_or_b64 exec, exec, s[8:9]
	v_mov_b32_e32 v6, s3
	v_add_co_u32_e32 v0, vcc, s2, v0
	s_add_u32 s6, s6, 1
	v_addc_co_u32_e32 v1, vcc, v1, v6, vcc
	s_addc_u32 s7, s7, 0
	v_cmp_eq_u32_e32 vcc, s6, v11
	s_or_b64 s[4:5], vcc, s[4:5]
	v_add_u32_e32 v10, 4, v10
	s_andn2_b64 exec, exec, s[4:5]
	s_cbranch_execz .LBB5_17
.LBB5_14:                               ; =>This Inner Loop Header: Depth=1
	s_and_saveexec_b64 s[8:9], s[0:1]
	s_cbranch_execz .LBB5_13
; %bb.15:                               ;   in Loop: Header=BB5_14 Depth=1
	s_cmp_eq_u32 s6, 1
	s_cselect_b64 vcc, -1, 0
	v_cndmask_b32_e32 v6, v2, v3, vcc
	v_cmp_neq_f32_e32 vcc, 0, v6
	v_mov_b32_e32 v6, 0
	s_and_saveexec_b64 s[10:11], vcc
	s_cbranch_execz .LBB5_12
; %bb.16:                               ;   in Loop: Header=BB5_14 Depth=1
	ds_read_b32 v6, v10
	s_cmp_eq_u32 s6, 1
	s_cselect_b64 vcc, -1, 0
	v_cndmask_b32_e32 v7, v4, v5, vcc
	s_waitcnt lgkmcnt(0)
	v_div_scale_f32 v8, s[12:13], v7, v7, v6
	v_rcp_f32_e32 v9, v8
	v_div_scale_f32 v12, vcc, v6, v7, v6
	v_fma_f32 v13, -v8, v9, 1.0
	v_fmac_f32_e32 v9, v13, v9
	v_mul_f32_e32 v13, v12, v9
	v_fma_f32 v14, -v8, v13, v12
	v_fmac_f32_e32 v13, v14, v9
	v_fma_f32 v8, -v8, v13, v12
	v_div_fmas_f32 v8, v8, v9, v13
	v_div_fixup_f32 v6, v8, v7, v6
	v_cvt_f16_f32_e32 v6, v6
	s_branch .LBB5_12
.LBB5_17:
	s_endpgm
	.section	.rodata,"a",@progbits
	.p2align	6, 0x0
	.amdhsa_kernel _Z34scaled_masked_softmax_warp_forwardI6__halfS0_fLi5EEvPT0_PKT_PKhT1_iii
		.amdhsa_group_segment_fixed_size 8192
		.amdhsa_private_segment_fixed_size 0
		.amdhsa_kernarg_size 296
		.amdhsa_user_sgpr_count 8
		.amdhsa_user_sgpr_private_segment_buffer 1
		.amdhsa_user_sgpr_dispatch_ptr 1
		.amdhsa_user_sgpr_queue_ptr 0
		.amdhsa_user_sgpr_kernarg_segment_ptr 1
		.amdhsa_user_sgpr_dispatch_id 0
		.amdhsa_user_sgpr_flat_scratch_init 0
		.amdhsa_user_sgpr_kernarg_preload_length 0
		.amdhsa_user_sgpr_kernarg_preload_offset 0
		.amdhsa_user_sgpr_private_segment_size 0
		.amdhsa_uses_dynamic_stack 0
		.amdhsa_system_sgpr_private_segment_wavefront_offset 0
		.amdhsa_system_sgpr_workgroup_id_x 1
		.amdhsa_system_sgpr_workgroup_id_y 1
		.amdhsa_system_sgpr_workgroup_id_z 1
		.amdhsa_system_sgpr_workgroup_info 0
		.amdhsa_system_vgpr_workitem_id 2
		.amdhsa_next_free_vgpr 17
		.amdhsa_next_free_sgpr 24
		.amdhsa_accum_offset 20
		.amdhsa_reserve_vcc 1
		.amdhsa_reserve_flat_scratch 0
		.amdhsa_float_round_mode_32 0
		.amdhsa_float_round_mode_16_64 0
		.amdhsa_float_denorm_mode_32 3
		.amdhsa_float_denorm_mode_16_64 3
		.amdhsa_dx10_clamp 1
		.amdhsa_ieee_mode 1
		.amdhsa_fp16_overflow 0
		.amdhsa_tg_split 0
		.amdhsa_exception_fp_ieee_invalid_op 0
		.amdhsa_exception_fp_denorm_src 0
		.amdhsa_exception_fp_ieee_div_zero 0
		.amdhsa_exception_fp_ieee_overflow 0
		.amdhsa_exception_fp_ieee_underflow 0
		.amdhsa_exception_fp_ieee_inexact 0
		.amdhsa_exception_int_div_zero 0
	.end_amdhsa_kernel
	.section	.text._Z34scaled_masked_softmax_warp_forwardI6__halfS0_fLi5EEvPT0_PKT_PKhT1_iii,"axG",@progbits,_Z34scaled_masked_softmax_warp_forwardI6__halfS0_fLi5EEvPT0_PKT_PKhT1_iii,comdat
.Lfunc_end5:
	.size	_Z34scaled_masked_softmax_warp_forwardI6__halfS0_fLi5EEvPT0_PKT_PKhT1_iii, .Lfunc_end5-_Z34scaled_masked_softmax_warp_forwardI6__halfS0_fLi5EEvPT0_PKT_PKhT1_iii
                                        ; -- End function
	.section	.AMDGPU.csdata,"",@progbits
; Kernel info:
; codeLenInByte = 1580
; NumSgprs: 28
; NumVgprs: 17
; NumAgprs: 0
; TotalNumVgprs: 17
; ScratchSize: 0
; MemoryBound: 0
; FloatMode: 240
; IeeeMode: 1
; LDSByteSize: 8192 bytes/workgroup (compile time only)
; SGPRBlocks: 3
; VGPRBlocks: 2
; NumSGPRsForWavesPerEU: 28
; NumVGPRsForWavesPerEU: 17
; AccumOffset: 20
; Occupancy: 8
; WaveLimiterHint : 0
; COMPUTE_PGM_RSRC2:SCRATCH_EN: 0
; COMPUTE_PGM_RSRC2:USER_SGPR: 8
; COMPUTE_PGM_RSRC2:TRAP_HANDLER: 0
; COMPUTE_PGM_RSRC2:TGID_X_EN: 1
; COMPUTE_PGM_RSRC2:TGID_Y_EN: 1
; COMPUTE_PGM_RSRC2:TGID_Z_EN: 1
; COMPUTE_PGM_RSRC2:TIDIG_COMP_CNT: 2
; COMPUTE_PGM_RSRC3_GFX90A:ACCUM_OFFSET: 4
; COMPUTE_PGM_RSRC3_GFX90A:TG_SPLIT: 0
	.section	.text._Z34scaled_masked_softmax_warp_forwardI6__halfS0_fLi6EEvPT0_PKT_PKhT1_iii,"axG",@progbits,_Z34scaled_masked_softmax_warp_forwardI6__halfS0_fLi6EEvPT0_PKT_PKhT1_iii,comdat
	.protected	_Z34scaled_masked_softmax_warp_forwardI6__halfS0_fLi6EEvPT0_PKT_PKhT1_iii ; -- Begin function _Z34scaled_masked_softmax_warp_forwardI6__halfS0_fLi6EEvPT0_PKT_PKhT1_iii
	.globl	_Z34scaled_masked_softmax_warp_forwardI6__halfS0_fLi6EEvPT0_PKT_PKhT1_iii
	.p2align	8
	.type	_Z34scaled_masked_softmax_warp_forwardI6__halfS0_fLi6EEvPT0_PKT_PKhT1_iii,@function
_Z34scaled_masked_softmax_warp_forwardI6__halfS0_fLi6EEvPT0_PKT_PKhT1_iii: ; @_Z34scaled_masked_softmax_warp_forwardI6__halfS0_fLi6EEvPT0_PKT_PKhT1_iii
; %bb.0:
	s_load_dword s2, s[6:7], 0x34
	s_load_dwordx4 s[12:15], s[6:7], 0x18
	s_load_dwordx2 s[0:1], s[6:7], 0x28
	s_mov_b32 s11, s8
	s_waitcnt lgkmcnt(0)
	s_lshr_b32 s20, s2, 16
	s_cmp_eq_u32 s15, 1
	s_cbranch_scc1 .LBB6_2
; %bb.1:
	s_mul_i32 s2, s0, s10
	s_add_i32 s11, s2, s8
.LBB6_2:
	s_load_dwordx2 s[22:23], s[4:5], 0x4
	s_load_dwordx4 s[16:19], s[6:7], 0x0
	s_load_dwordx2 s[2:3], s[6:7], 0x10
	s_mul_i32 s1, s1, s10
	s_add_i32 s1, s1, s9
	s_waitcnt lgkmcnt(0)
	s_lshr_b32 s4, s22, 16
	v_and_b32_e32 v11, 0x3ff, v0
	s_mul_i32 s4, s4, s23
	s_mul_i32 s0, s0, s1
	v_bfe_u32 v1, v0, 10, 10
	v_mul_lo_u32 v2, s4, v11
	s_and_b32 s4, 0xffff, s20
	s_add_i32 s0, s0, s8
	v_mad_u32_u24 v2, v1, s23, v2
	v_bfe_u32 v0, v0, 20, 10
	s_mul_i32 s0, s0, s4
	v_add_lshl_u32 v7, v2, v0, 4
	v_add_u32_e32 v0, s0, v1
	v_lshlrev_b32_e32 v2, 1, v0
	v_sub_u32_e32 v2, s13, v2
	v_cmp_lt_i32_e32 vcc, 0, v2
	v_cmp_gt_i32_e64 s[0:1], 1, v2
                                        ; implicit-def: $vgpr3
	s_and_saveexec_b64 s[6:7], s[0:1]
	s_xor_b64 s[0:1], exec, s[6:7]
	s_cbranch_execz .LBB6_4
; %bb.3:
	ds_read_b32 v3, v7 offset:12
                                        ; implicit-def: $vgpr1
.LBB6_4:
	s_or_saveexec_b64 s[6:7], s[0:1]
	v_min_i32_e32 v2, 2, v2
	v_mul_lo_u32 v0, s14, v0
	v_max_i32_e32 v10, 1, v2
	v_add_u32_e32 v12, 32, v11
	v_lshl_add_u32 v4, v0, 1, v11
	s_xor_b64 exec, exec, s[6:7]
	s_cbranch_execz .LBB6_16
; %bb.5:
	s_mul_i32 s0, s11, s4
	v_add_u32_e32 v0, s0, v1
	v_mul_lo_u32 v0, s14, v0
	v_lshl_add_u32 v0, v0, 1, v11
	v_ashrrev_i32_e32 v1, 31, v0
	v_mov_b32_e32 v2, s3
	v_add_co_u32_e64 v0, s[0:1], s2, v0
	v_addc_co_u32_e64 v1, s[0:1], v2, v1, s[0:1]
	v_add_co_u32_e64 v0, s[4:5], 32, v0
	v_ashrrev_i32_e32 v5, 31, v4
	v_addc_co_u32_e64 v1, s[4:5], 0, v1, s[4:5]
	s_waitcnt lgkmcnt(0)
	v_lshlrev_b64 v[2:3], 1, v[4:5]
	v_mov_b32_e32 v5, s19
	v_add_co_u32_e64 v2, s[4:5], s18, v2
	v_addc_co_u32_e64 v3, s[4:5], v3, v5, s[4:5]
	s_ashr_i32 s15, s14, 31
	v_add_co_u32_e64 v2, s[4:5], 64, v2
	s_lshl_b64 s[10:11], s[14:15], 1
	v_cmp_gt_i32_e64 s[0:1], s14, v11
	v_cmp_gt_i32_e64 s[2:3], s14, v12
	v_addc_co_u32_e64 v3, s[4:5], 0, v3, s[4:5]
	s_mov_b64 s[8:9], 0
	v_mov_b32_e32 v5, s11
	v_mov_b32_e32 v6, s15
	;; [unrolled: 1-line block ×4, first 2 shown]
	s_branch .LBB6_8
.LBB6_6:                                ;   in Loop: Header=BB6_8 Depth=1
	s_or_b64 exec, exec, s[20:21]
.LBB6_7:                                ;   in Loop: Header=BB6_8 Depth=1
	s_or_b64 exec, exec, s[18:19]
	v_add_co_u32_e64 v2, s[4:5], s10, v2
	v_add_u32_e32 v8, -1, v8
	v_addc_co_u32_e64 v3, s[4:5], v3, v5, s[4:5]
	v_cmp_eq_u32_e64 s[4:5], 0, v8
	s_or_b64 s[8:9], s[4:5], s[8:9]
	v_add_co_u32_e64 v0, s[4:5], s14, v0
	ds_write_b32 v9, v13 offset:4
	v_add_u32_e32 v9, 8, v9
	v_addc_co_u32_e64 v1, s[4:5], v1, v6, s[4:5]
	s_andn2_b64 exec, exec, s[8:9]
	s_cbranch_execz .LBB6_15
.LBB6_8:                                ; =>This Inner Loop Header: Depth=1
	v_mov_b32_e32 v13, 0xff800000
	v_mov_b32_e32 v14, 0xff800000
	s_and_saveexec_b64 s[18:19], s[0:1]
	s_cbranch_execz .LBB6_12
; %bb.9:                                ;   in Loop: Header=BB6_8 Depth=1
	global_load_ubyte v14, v[0:1], off offset:-32
	s_waitcnt vmcnt(0)
	v_cmp_ne_u16_e64 s[4:5], 1, v14
	v_mov_b32_e32 v14, 0xc61c4000
	s_and_saveexec_b64 s[20:21], s[4:5]
	s_cbranch_execz .LBB6_11
; %bb.10:                               ;   in Loop: Header=BB6_8 Depth=1
	global_load_ushort v14, v[2:3], off offset:-64
	s_waitcnt vmcnt(0)
	v_cvt_f32_f16_e32 v14, v14
	v_mul_f32_e32 v14, s12, v14
.LBB6_11:                               ;   in Loop: Header=BB6_8 Depth=1
	s_or_b64 exec, exec, s[20:21]
.LBB6_12:                               ;   in Loop: Header=BB6_8 Depth=1
	s_or_b64 exec, exec, s[18:19]
	ds_write_b32 v9, v14
	s_and_saveexec_b64 s[18:19], s[2:3]
	s_cbranch_execz .LBB6_7
; %bb.13:                               ;   in Loop: Header=BB6_8 Depth=1
	global_load_ubyte v13, v[0:1], off
	s_waitcnt vmcnt(0)
	v_cmp_ne_u16_e64 s[4:5], 1, v13
	v_mov_b32_e32 v13, 0xc61c4000
	s_and_saveexec_b64 s[20:21], s[4:5]
	s_cbranch_execz .LBB6_6
; %bb.14:                               ;   in Loop: Header=BB6_8 Depth=1
	global_load_ushort v13, v[2:3], off
	s_waitcnt vmcnt(0)
	v_cvt_f32_f16_e32 v13, v13
	v_mul_f32_e32 v13, s12, v13
	s_branch .LBB6_6
.LBB6_15:
	s_or_b64 exec, exec, s[8:9]
	ds_read_b128 v[0:3], v7
.LBB6_16:
	s_or_b64 exec, exec, s[6:7]
	v_mbcnt_lo_u32_b32 v8, -1, 0
	v_mbcnt_hi_u32_b32 v8, -1, v8
	s_waitcnt lgkmcnt(0)
	v_cmp_gt_f32_e64 s[0:1], v0, v1
	v_and_b32_e32 v9, 0x60, v8
	v_cndmask_b32_e64 v5, v1, v0, s[0:1]
	v_cmp_gt_f32_e64 s[0:1], v2, v3
	v_add_u32_e32 v9, 32, v9
	v_xor_b32_e32 v13, 16, v8
	v_cndmask_b32_e64 v6, v3, v2, s[0:1]
	v_cmp_lt_i32_e64 s[0:1], v13, v9
	v_xor_b32_e32 v16, 8, v8
	v_cndmask_b32_e64 v13, v8, v13, s[0:1]
	v_cmp_lt_i32_e64 s[0:1], v16, v9
	v_lshlrev_b32_e32 v13, 2, v13
	v_cndmask_b32_e64 v16, v8, v16, s[0:1]
	ds_bpermute_b32 v14, v13, v5
	v_lshlrev_b32_e32 v18, 2, v16
	v_xor_b32_e32 v16, 4, v8
	v_cmp_lt_i32_e64 s[0:1], v16, v9
	v_cndmask_b32_e64 v16, v8, v16, s[0:1]
	v_lshlrev_b32_e32 v19, 2, v16
	v_xor_b32_e32 v16, 2, v8
	v_cmp_lt_i32_e64 s[0:1], v16, v9
	v_cndmask_b32_e64 v16, v8, v16, s[0:1]
	s_waitcnt lgkmcnt(0)
	v_cmp_lt_f32_e64 s[0:1], v5, v14
	ds_bpermute_b32 v15, v13, v6
	v_cndmask_b32_e64 v5, v5, v14, s[0:1]
	ds_bpermute_b32 v14, v18, v5
	v_lshlrev_b32_e32 v20, 2, v16
	v_xor_b32_e32 v16, 1, v8
	s_waitcnt lgkmcnt(1)
	v_cmp_lt_f32_e64 s[0:1], v6, v15
	v_cndmask_b32_e64 v6, v6, v15, s[0:1]
	s_waitcnt lgkmcnt(0)
	v_cmp_lt_f32_e64 s[0:1], v5, v14
	ds_bpermute_b32 v15, v18, v6
	v_cndmask_b32_e64 v5, v5, v14, s[0:1]
	ds_bpermute_b32 v14, v19, v5
	v_cmp_lt_i32_e64 s[0:1], v16, v9
	v_cndmask_b32_e64 v8, v8, v16, s[0:1]
	s_waitcnt lgkmcnt(1)
	v_cmp_lt_f32_e64 s[0:1], v6, v15
	v_cndmask_b32_e64 v6, v6, v15, s[0:1]
	s_waitcnt lgkmcnt(0)
	v_cmp_lt_f32_e64 s[0:1], v5, v14
	ds_bpermute_b32 v9, v19, v6
	v_cndmask_b32_e64 v5, v5, v14, s[0:1]
	ds_bpermute_b32 v14, v20, v5
	v_lshlrev_b32_e32 v21, 2, v8
	s_mov_b32 s2, 0x3fb8aa3b
	s_waitcnt lgkmcnt(1)
	v_cmp_lt_f32_e64 s[0:1], v6, v9
	v_cndmask_b32_e64 v6, v6, v9, s[0:1]
	s_waitcnt lgkmcnt(0)
	v_cmp_lt_f32_e64 s[0:1], v5, v14
	ds_bpermute_b32 v8, v20, v6
	v_cndmask_b32_e64 v5, v5, v14, s[0:1]
	ds_bpermute_b32 v9, v21, v5
	s_mov_b32 s3, 0xc2ce8ed0
	s_mov_b32 s4, 0x42b17218
	s_waitcnt lgkmcnt(1)
	v_cmp_lt_f32_e64 s[0:1], v6, v8
	v_cndmask_b32_e64 v14, v6, v8, s[0:1]
	s_waitcnt lgkmcnt(0)
	v_cmp_lt_f32_e64 s[0:1], v5, v9
	v_cndmask_b32_e64 v6, v5, v9, s[0:1]
	v_pk_add_f32 v[8:9], v[0:1], v[6:7] op_sel_hi:[1,0] neg_lo:[0,1] neg_hi:[0,1]
	v_mul_f32_e32 v0, 0x3fb8aa3b, v9
	v_fma_f32 v1, v9, s2, -v0
	v_rndne_f32_e32 v5, v0
	v_fmac_f32_e32 v1, 0x32a5705f, v9
	v_sub_f32_e32 v0, v0, v5
	ds_bpermute_b32 v15, v21, v14
	v_add_f32_e32 v0, v0, v1
	v_exp_f32_e32 v1, v0
	v_cvt_i32_f32_e32 v5, v5
	v_mov_b32_e32 v16, 0x7f800000
	s_waitcnt lgkmcnt(0)
	v_cmp_lt_f32_e64 s[0:1], v14, v15
	v_cndmask_b32_e64 v0, v14, v15, s[0:1]
	v_ldexp_f32 v1, v1, v5
	v_mul_f32_e32 v5, 0x3fb8aa3b, v8
	v_fma_f32 v14, v8, s2, -v5
	v_rndne_f32_e32 v15, v5
	v_fmac_f32_e32 v14, 0x32a5705f, v8
	v_sub_f32_e32 v5, v5, v15
	v_add_f32_e32 v5, v5, v14
	v_exp_f32_e32 v5, v5
	v_cvt_i32_f32_e32 v14, v15
	v_cmp_ngt_f32_e64 s[0:1], s3, v9
	v_cndmask_b32_e64 v1, 0, v1, s[0:1]
	v_cmp_nlt_f32_e64 s[0:1], s4, v9
	v_cndmask_b32_e64 v15, v16, v1, s[0:1]
	v_ldexp_f32 v1, v5, v14
	v_pk_add_f32 v[2:3], v[2:3], v[0:1] op_sel_hi:[1,0] neg_lo:[0,1] neg_hi:[0,1]
	v_mul_f32_e32 v5, 0x3fb8aa3b, v3
	v_fma_f32 v9, v3, s2, -v5
	v_rndne_f32_e32 v14, v5
	v_fmac_f32_e32 v9, 0x32a5705f, v3
	v_sub_f32_e32 v5, v5, v14
	v_add_f32_e32 v5, v5, v9
	v_exp_f32_e32 v5, v5
	v_cvt_i32_f32_e32 v9, v14
	v_cmp_ngt_f32_e64 s[0:1], s3, v8
	v_cndmask_b32_e64 v1, 0, v1, s[0:1]
	v_cmp_nlt_f32_e64 s[0:1], s4, v8
	v_cndmask_b32_e64 v14, v16, v1, s[0:1]
	v_ldexp_f32 v1, v5, v9
	v_mul_f32_e32 v5, 0x3fb8aa3b, v2
	v_fma_f32 v8, v2, s2, -v5
	v_rndne_f32_e32 v9, v5
	v_fmac_f32_e32 v8, 0x32a5705f, v2
	v_sub_f32_e32 v5, v5, v9
	v_add_f32_e32 v5, v5, v8
	v_exp_f32_e32 v5, v5
	v_cvt_i32_f32_e32 v8, v9
	v_cmp_ngt_f32_e64 s[0:1], s3, v3
	v_cndmask_b32_e64 v1, 0, v1, s[0:1]
	v_cmp_nlt_f32_e64 s[0:1], s4, v3
	v_cndmask_b32_e64 v17, v16, v1, s[0:1]
	v_ldexp_f32 v1, v5, v8
	v_cmp_ngt_f32_e64 s[0:1], s3, v2
	v_cndmask_b32_e64 v1, 0, v1, s[0:1]
	v_cmp_nlt_f32_e64 s[0:1], s4, v2
	v_cndmask_b32_e64 v16, v16, v1, s[0:1]
	ds_write_b128 v7, v[14:17]
	v_mov_b32_e32 v2, v14
	v_mov_b32_e32 v3, v16
	;; [unrolled: 1-line block ×3, first 2 shown]
	v_pk_add_f32 v[2:3], v[2:3], v[16:17]
	ds_bpermute_b32 v8, v13, v2
	ds_bpermute_b32 v9, v13, v3
	s_waitcnt lgkmcnt(0)
	v_pk_add_f32 v[2:3], v[2:3], v[8:9]
	ds_bpermute_b32 v8, v18, v2
	ds_bpermute_b32 v9, v18, v3
	s_waitcnt lgkmcnt(0)
	;; [unrolled: 4-line block ×4, first 2 shown]
	v_pk_add_f32 v[2:3], v[2:3], v[8:9]
	ds_bpermute_b32 v8, v21, v2
	ds_bpermute_b32 v9, v21, v3
	s_and_saveexec_b64 s[0:1], vcc
	s_cbranch_execz .LBB6_26
; %bb.17:
	s_mov_b32 s0, 0xc61c4000
	v_cmp_eq_f32_e32 vcc, s0, v0
	v_ashrrev_i32_e32 v5, 31, v4
	v_cndmask_b32_e64 v1, 1.0, 0, vcc
	v_cmp_eq_f32_e32 vcc, s0, v6
	v_lshlrev_b64 v[4:5], 1, v[4:5]
	v_cndmask_b32_e64 v0, 1.0, 0, vcc
	v_mov_b32_e32 v6, s17
	v_add_co_u32_e32 v4, vcc, s16, v4
	v_addc_co_u32_e32 v5, vcc, v5, v6, vcc
	v_add_co_u32_e32 v4, vcc, 64, v4
	s_ashr_i32 s15, s14, 31
	s_waitcnt lgkmcnt(0)
	v_pk_add_f32 v[2:3], v[2:3], v[8:9]
	v_cmp_gt_i32_e64 s[0:1], s14, v11
	v_cmp_gt_i32_e64 s[2:3], s14, v12
	v_addc_co_u32_e32 v5, vcc, 0, v5, vcc
	s_lshl_b64 s[6:7], s[14:15], 1
	s_mov_b64 s[8:9], 0
	s_mov_b64 s[10:11], 0
	s_branch .LBB6_20
.LBB6_18:                               ;   in Loop: Header=BB6_20 Depth=1
	s_or_b64 exec, exec, s[14:15]
	global_store_short v[4:5], v8, off
.LBB6_19:                               ;   in Loop: Header=BB6_20 Depth=1
	s_or_b64 exec, exec, s[12:13]
	s_add_u32 s10, s10, 1
	s_addc_u32 s11, s11, 0
	v_cmp_eq_u32_e32 vcc, s10, v10
	v_mov_b32_e32 v6, s7
	s_or_b64 s[8:9], vcc, s[8:9]
	v_add_co_u32_e32 v4, vcc, s6, v4
	v_add_u32_e32 v7, 8, v7
	v_addc_co_u32_e32 v5, vcc, v5, v6, vcc
	s_andn2_b64 exec, exec, s[8:9]
	s_cbranch_execz .LBB6_26
.LBB6_20:                               ; =>This Inner Loop Header: Depth=1
	s_and_saveexec_b64 s[12:13], s[0:1]
	s_cbranch_execz .LBB6_19
; %bb.21:                               ;   in Loop: Header=BB6_20 Depth=1
	s_cmp_eq_u32 s10, 1
	s_cselect_b64 vcc, -1, 0
	v_cndmask_b32_e32 v6, v0, v1, vcc
	v_cmp_neq_f32_e64 s[4:5], 0, v6
	v_cndmask_b32_e32 v6, v2, v3, vcc
	v_mov_b32_e32 v8, 0
	s_and_saveexec_b64 s[14:15], s[4:5]
	s_cbranch_execz .LBB6_23
; %bb.22:                               ;   in Loop: Header=BB6_20 Depth=1
	ds_read_b32 v8, v7
	s_waitcnt lgkmcnt(0)
	v_div_scale_f32 v9, s[16:17], v6, v6, v8
	v_rcp_f32_e32 v11, v9
	v_div_scale_f32 v12, vcc, v8, v6, v8
	v_fma_f32 v13, -v9, v11, 1.0
	v_fmac_f32_e32 v11, v13, v11
	v_mul_f32_e32 v13, v12, v11
	v_fma_f32 v14, -v9, v13, v12
	v_fmac_f32_e32 v13, v14, v11
	v_fma_f32 v9, -v9, v13, v12
	v_div_fmas_f32 v9, v9, v11, v13
	v_div_fixup_f32 v8, v9, v6, v8
	v_cvt_f16_f32_e32 v8, v8
.LBB6_23:                               ;   in Loop: Header=BB6_20 Depth=1
	s_or_b64 exec, exec, s[14:15]
	global_store_short v[4:5], v8, off offset:-64
	s_and_b64 exec, exec, s[2:3]
	s_cbranch_execz .LBB6_19
; %bb.24:                               ;   in Loop: Header=BB6_20 Depth=1
	v_mov_b32_e32 v8, 0
	s_and_saveexec_b64 s[14:15], s[4:5]
	s_cbranch_execz .LBB6_18
; %bb.25:                               ;   in Loop: Header=BB6_20 Depth=1
	ds_read_b32 v8, v7 offset:4
	s_waitcnt lgkmcnt(0)
	v_div_scale_f32 v9, s[4:5], v6, v6, v8
	v_rcp_f32_e32 v11, v9
	v_div_scale_f32 v12, vcc, v8, v6, v8
	v_fma_f32 v13, -v9, v11, 1.0
	v_fmac_f32_e32 v11, v13, v11
	v_mul_f32_e32 v13, v12, v11
	v_fma_f32 v14, -v9, v13, v12
	v_fmac_f32_e32 v13, v14, v11
	v_fma_f32 v9, -v9, v13, v12
	v_div_fmas_f32 v9, v9, v11, v13
	v_div_fixup_f32 v6, v9, v6, v8
	v_cvt_f16_f32_e32 v8, v6
	s_branch .LBB6_18
.LBB6_26:
	s_endpgm
	.section	.rodata,"a",@progbits
	.p2align	6, 0x0
	.amdhsa_kernel _Z34scaled_masked_softmax_warp_forwardI6__halfS0_fLi6EEvPT0_PKT_PKhT1_iii
		.amdhsa_group_segment_fixed_size 16384
		.amdhsa_private_segment_fixed_size 0
		.amdhsa_kernarg_size 296
		.amdhsa_user_sgpr_count 8
		.amdhsa_user_sgpr_private_segment_buffer 1
		.amdhsa_user_sgpr_dispatch_ptr 1
		.amdhsa_user_sgpr_queue_ptr 0
		.amdhsa_user_sgpr_kernarg_segment_ptr 1
		.amdhsa_user_sgpr_dispatch_id 0
		.amdhsa_user_sgpr_flat_scratch_init 0
		.amdhsa_user_sgpr_kernarg_preload_length 0
		.amdhsa_user_sgpr_kernarg_preload_offset 0
		.amdhsa_user_sgpr_private_segment_size 0
		.amdhsa_uses_dynamic_stack 0
		.amdhsa_system_sgpr_private_segment_wavefront_offset 0
		.amdhsa_system_sgpr_workgroup_id_x 1
		.amdhsa_system_sgpr_workgroup_id_y 1
		.amdhsa_system_sgpr_workgroup_id_z 1
		.amdhsa_system_sgpr_workgroup_info 0
		.amdhsa_system_vgpr_workitem_id 2
		.amdhsa_next_free_vgpr 22
		.amdhsa_next_free_sgpr 24
		.amdhsa_accum_offset 24
		.amdhsa_reserve_vcc 1
		.amdhsa_reserve_flat_scratch 0
		.amdhsa_float_round_mode_32 0
		.amdhsa_float_round_mode_16_64 0
		.amdhsa_float_denorm_mode_32 3
		.amdhsa_float_denorm_mode_16_64 3
		.amdhsa_dx10_clamp 1
		.amdhsa_ieee_mode 1
		.amdhsa_fp16_overflow 0
		.amdhsa_tg_split 0
		.amdhsa_exception_fp_ieee_invalid_op 0
		.amdhsa_exception_fp_denorm_src 0
		.amdhsa_exception_fp_ieee_div_zero 0
		.amdhsa_exception_fp_ieee_overflow 0
		.amdhsa_exception_fp_ieee_underflow 0
		.amdhsa_exception_fp_ieee_inexact 0
		.amdhsa_exception_int_div_zero 0
	.end_amdhsa_kernel
	.section	.text._Z34scaled_masked_softmax_warp_forwardI6__halfS0_fLi6EEvPT0_PKT_PKhT1_iii,"axG",@progbits,_Z34scaled_masked_softmax_warp_forwardI6__halfS0_fLi6EEvPT0_PKT_PKhT1_iii,comdat
.Lfunc_end6:
	.size	_Z34scaled_masked_softmax_warp_forwardI6__halfS0_fLi6EEvPT0_PKT_PKhT1_iii, .Lfunc_end6-_Z34scaled_masked_softmax_warp_forwardI6__halfS0_fLi6EEvPT0_PKT_PKhT1_iii
                                        ; -- End function
	.section	.AMDGPU.csdata,"",@progbits
; Kernel info:
; codeLenInByte = 2108
; NumSgprs: 28
; NumVgprs: 22
; NumAgprs: 0
; TotalNumVgprs: 22
; ScratchSize: 0
; MemoryBound: 0
; FloatMode: 240
; IeeeMode: 1
; LDSByteSize: 16384 bytes/workgroup (compile time only)
; SGPRBlocks: 3
; VGPRBlocks: 2
; NumSGPRsForWavesPerEU: 28
; NumVGPRsForWavesPerEU: 22
; AccumOffset: 24
; Occupancy: 8
; WaveLimiterHint : 0
; COMPUTE_PGM_RSRC2:SCRATCH_EN: 0
; COMPUTE_PGM_RSRC2:USER_SGPR: 8
; COMPUTE_PGM_RSRC2:TRAP_HANDLER: 0
; COMPUTE_PGM_RSRC2:TGID_X_EN: 1
; COMPUTE_PGM_RSRC2:TGID_Y_EN: 1
; COMPUTE_PGM_RSRC2:TGID_Z_EN: 1
; COMPUTE_PGM_RSRC2:TIDIG_COMP_CNT: 2
; COMPUTE_PGM_RSRC3_GFX90A:ACCUM_OFFSET: 5
; COMPUTE_PGM_RSRC3_GFX90A:TG_SPLIT: 0
	.section	.text._Z34scaled_masked_softmax_warp_forwardI6__halfS0_fLi7EEvPT0_PKT_PKhT1_iii,"axG",@progbits,_Z34scaled_masked_softmax_warp_forwardI6__halfS0_fLi7EEvPT0_PKT_PKhT1_iii,comdat
	.protected	_Z34scaled_masked_softmax_warp_forwardI6__halfS0_fLi7EEvPT0_PKT_PKhT1_iii ; -- Begin function _Z34scaled_masked_softmax_warp_forwardI6__halfS0_fLi7EEvPT0_PKT_PKhT1_iii
	.globl	_Z34scaled_masked_softmax_warp_forwardI6__halfS0_fLi7EEvPT0_PKT_PKhT1_iii
	.p2align	8
	.type	_Z34scaled_masked_softmax_warp_forwardI6__halfS0_fLi7EEvPT0_PKT_PKhT1_iii,@function
_Z34scaled_masked_softmax_warp_forwardI6__halfS0_fLi7EEvPT0_PKT_PKhT1_iii: ; @_Z34scaled_masked_softmax_warp_forwardI6__halfS0_fLi7EEvPT0_PKT_PKhT1_iii
; %bb.0:
	s_load_dword s0, s[6:7], 0x34
	s_load_dwordx4 s[12:15], s[6:7], 0x18
	s_load_dwordx2 s[2:3], s[6:7], 0x28
	s_mov_b32 s11, s8
	s_waitcnt lgkmcnt(0)
	s_lshr_b32 s20, s0, 16
	s_cmp_eq_u32 s15, 1
	s_cbranch_scc1 .LBB7_2
; %bb.1:
	s_mul_i32 s0, s2, s10
	s_add_i32 s11, s0, s8
.LBB7_2:
	s_load_dwordx2 s[22:23], s[4:5], 0x4
	s_load_dwordx4 s[16:19], s[6:7], 0x0
	s_load_dwordx2 s[0:1], s[6:7], 0x10
	s_mul_i32 s3, s3, s10
	s_add_i32 s3, s3, s9
	s_waitcnt lgkmcnt(0)
	s_lshr_b32 s4, s22, 16
	v_and_b32_e32 v1, 0x3ff, v0
	s_mul_i32 s4, s4, s23
	s_mul_i32 s2, s2, s3
	v_bfe_u32 v2, v0, 10, 10
	v_mul_lo_u32 v3, s4, v1
	s_and_b32 s6, 0xffff, s20
	s_add_i32 s2, s2, s8
	v_mad_u32_u24 v3, v2, s23, v3
	v_bfe_u32 v0, v0, 20, 10
	s_mul_i32 s2, s2, s6
	v_add_lshl_u32 v13, v3, v0, 5
	v_add_u32_e32 v0, s2, v2
	v_lshlrev_b32_e32 v3, 1, v0
	v_sub_u32_e32 v3, s13, v3
	v_min_i32_e32 v4, 2, v3
	v_lshlrev_b32_e32 v15, 2, v1
	v_mul_lo_u32 v0, s14, v0
	v_cmp_lt_i32_e32 vcc, 0, v3
	v_max_i32_e32 v14, 1, v4
	v_lshl_add_u32 v8, v0, 1, v15
                                        ; implicit-def: $vgpr5
                                        ; implicit-def: $vgpr1
	s_and_saveexec_b64 s[4:5], vcc
	s_cbranch_execz .LBB7_12
; %bb.3:
	s_mul_i32 s2, s11, s6
	v_add_u32_e32 v0, s2, v2
	v_mul_lo_u32 v0, s14, v0
	v_lshl_add_u32 v0, v0, 1, v15
	v_ashrrev_i32_e32 v1, 31, v0
	v_mov_b32_e32 v2, s1
	v_add_co_u32_e64 v6, s[0:1], s0, v0
	v_ashrrev_i32_e32 v9, 31, v8
	v_addc_co_u32_e64 v7, s[0:1], v2, v1, s[0:1]
	v_lshlrev_b64 v[0:1], 1, v[8:9]
	v_mov_b32_e32 v2, s19
	v_add_co_u32_e64 v0, s[2:3], s18, v0
	s_ashr_i32 s15, s14, 31
	v_addc_co_u32_e64 v1, s[2:3], v1, v2, s[2:3]
	v_add_co_u32_e64 v10, s[2:3], 4, v0
	s_lshl_b64 s[8:9], s[14:15], 1
	v_cmp_le_i32_e64 s[0:1], s14, v15
	v_addc_co_u32_e64 v11, s[2:3], 0, v1, s[2:3]
	s_mov_b64 s[6:7], 0
	s_movk_i32 s13, 0xff
	v_mov_b32_e32 v5, s15
	v_mov_b32_e32 v9, s9
	;; [unrolled: 1-line block ×7, first 2 shown]
	s_branch .LBB7_6
.LBB7_4:                                ;   in Loop: Header=BB7_6 Depth=1
	s_or_b64 exec, exec, s[2:3]
	s_waitcnt vmcnt(1)
	v_cvt_f32_f16_sdwa v21, v3 dst_sel:DWORD dst_unused:UNUSED_PAD src0_sel:WORD_1
	v_cvt_f32_f16_e32 v19, v3
	v_lshrrev_b32_e32 v20, 8, v1
	v_cmp_ne_u16_sdwa s[2:3], v20, v12 src0_sel:BYTE_0 src1_sel:DWORD
	v_mul_f32_e32 v20, s12, v21
	s_waitcnt vmcnt(0)
	v_cvt_f32_f16_e32 v21, v4
	v_mul_f32_e32 v3, s12, v19
	v_and_b32_sdwa v19, v1, s13 dst_sel:DWORD dst_unused:UNUSED_PAD src0_sel:WORD_1 src1_sel:DWORD
	v_cndmask_b32_e64 v3, v16, v3, s[2:3]
	v_cmp_ne_u16_e64 s[2:3], 1, v19
	v_cndmask_b32_e64 v4, v16, v20, s[2:3]
	ds_write_b96 v18, v[2:4]
	v_mul_f32_e32 v2, s12, v21
	v_cmp_ne_u16_sdwa s[2:3], v1, v12 src0_sel:BYTE_3 src1_sel:DWORD
	v_cndmask_b32_e64 v1, v16, v2, s[2:3]
.LBB7_5:                                ;   in Loop: Header=BB7_6 Depth=1
	s_or_b64 exec, exec, s[10:11]
	v_add_co_u32_e64 v6, s[2:3], s14, v6
	v_add_u32_e32 v17, -1, v17
	v_addc_co_u32_e64 v7, s[2:3], v7, v5, s[2:3]
	v_cmp_eq_u32_e64 s[2:3], 0, v17
	s_or_b64 s[6:7], s[2:3], s[6:7]
	v_add_co_u32_e64 v10, s[2:3], s8, v10
	ds_write_b32 v18, v1 offset:12
	v_add_u32_e32 v18, 16, v18
	v_addc_co_u32_e64 v11, s[2:3], v11, v9, s[2:3]
	s_andn2_b64 exec, exec, s[6:7]
	s_cbranch_execz .LBB7_11
.LBB7_6:                                ; =>This Inner Loop Header: Depth=1
                                        ; implicit-def: $sgpr9
	s_and_saveexec_b64 s[2:3], s[0:1]
	s_xor_b64 s[2:3], exec, s[2:3]
	s_cbranch_execz .LBB7_8
; %bb.7:                                ;   in Loop: Header=BB7_6 Depth=1
	v_mov_b32_e32 v1, v0
	v_mov_b32_e32 v2, v0
	s_mov_b32 s9, 0xff800000
	ds_write_b96 v18, v[0:2]
.LBB7_8:                                ;   in Loop: Header=BB7_6 Depth=1
	s_or_saveexec_b64 s[10:11], s[2:3]
	v_mov_b32_e32 v1, s9
	s_xor_b64 exec, exec, s[10:11]
	s_cbranch_execz .LBB7_5
; %bb.9:                                ;   in Loop: Header=BB7_6 Depth=1
	global_load_dword v1, v[6:7], off
	global_load_dword v3, v[10:11], off offset:-2
	global_load_ushort v4, v[10:11], off offset:2
	v_mov_b32_e32 v2, 0xc61c4000
	s_waitcnt vmcnt(2)
	v_cmp_ne_u16_sdwa s[18:19], v1, v12 src0_sel:BYTE_0 src1_sel:DWORD
	s_and_saveexec_b64 s[2:3], s[18:19]
	s_cbranch_execz .LBB7_4
; %bb.10:                               ;   in Loop: Header=BB7_6 Depth=1
	global_load_ushort v2, v[10:11], off offset:-4
	s_waitcnt vmcnt(0)
	v_cvt_f32_f16_e32 v2, v2
	v_mul_f32_e32 v2, s12, v2
	s_branch .LBB7_4
.LBB7_11:
	s_or_b64 exec, exec, s[6:7]
	ds_read_b128 v[4:7], v13
	ds_read_b128 v[0:3], v13 offset:16
.LBB7_12:
	s_or_b64 exec, exec, s[4:5]
	s_waitcnt lgkmcnt(1)
	v_cmp_gt_f32_e64 s[0:1], v4, v5
	v_cndmask_b32_e64 v4, v5, v4, s[0:1]
	v_cmp_gt_f32_e64 s[0:1], v4, v6
	v_cndmask_b32_e64 v4, v6, v4, s[0:1]
	;; [unrolled: 2-line block ×3, first 2 shown]
	s_waitcnt lgkmcnt(0)
	v_cmp_gt_f32_e64 s[0:1], v0, v1
	v_cndmask_b32_e64 v0, v1, v0, s[0:1]
	v_cmp_gt_f32_e64 s[0:1], v0, v2
	v_mbcnt_lo_u32_b32 v1, -1, 0
	v_cndmask_b32_e64 v0, v2, v0, s[0:1]
	v_mbcnt_hi_u32_b32 v1, -1, v1
	v_cmp_gt_f32_e64 s[0:1], v0, v3
	v_and_b32_e32 v2, 0x60, v1
	v_cndmask_b32_e64 v0, v3, v0, s[0:1]
	v_add_u32_e32 v2, 32, v2
	v_xor_b32_e32 v3, 16, v1
	v_cmp_lt_i32_e64 s[0:1], v3, v2
	v_xor_b32_e32 v6, 8, v1
	v_cndmask_b32_e64 v3, v1, v3, s[0:1]
	v_cmp_lt_i32_e64 s[0:1], v6, v2
	v_lshlrev_b32_e32 v9, 2, v3
	v_cndmask_b32_e64 v6, v1, v6, s[0:1]
	ds_bpermute_b32 v3, v9, v4
	v_lshlrev_b32_e32 v11, 2, v6
	v_xor_b32_e32 v6, 4, v1
	v_cmp_lt_i32_e64 s[0:1], v6, v2
	v_cndmask_b32_e64 v6, v1, v6, s[0:1]
	ds_bpermute_b32 v5, v9, v0
	v_lshlrev_b32_e32 v18, 2, v6
	v_xor_b32_e32 v6, 2, v1
	v_cmp_lt_i32_e64 s[0:1], v6, v2
	v_cndmask_b32_e64 v6, v1, v6, s[0:1]
	s_waitcnt lgkmcnt(1)
	v_cmp_lt_f32_e64 s[0:1], v4, v3
	v_cndmask_b32_e64 v3, v4, v3, s[0:1]
	ds_bpermute_b32 v4, v11, v3
	s_waitcnt lgkmcnt(1)
	v_cmp_lt_f32_e64 s[0:1], v0, v5
	v_cndmask_b32_e64 v0, v0, v5, s[0:1]
	ds_bpermute_b32 v5, v11, v0
	v_lshlrev_b32_e32 v19, 2, v6
	s_waitcnt lgkmcnt(1)
	v_cmp_lt_f32_e64 s[0:1], v3, v4
	v_cndmask_b32_e64 v3, v3, v4, s[0:1]
	ds_bpermute_b32 v4, v18, v3
	s_waitcnt lgkmcnt(1)
	v_cmp_lt_f32_e64 s[0:1], v0, v5
	v_cndmask_b32_e64 v0, v0, v5, s[0:1]
	v_xor_b32_e32 v6, 1, v1
	ds_bpermute_b32 v5, v18, v0
	v_cmp_lt_i32_e64 s[0:1], v6, v2
	v_cndmask_b32_e64 v1, v1, v6, s[0:1]
	s_waitcnt lgkmcnt(1)
	v_cmp_lt_f32_e64 s[0:1], v3, v4
	v_cndmask_b32_e64 v2, v3, v4, s[0:1]
	ds_bpermute_b32 v3, v19, v2
	s_waitcnt lgkmcnt(1)
	v_cmp_lt_f32_e64 s[0:1], v0, v5
	v_cndmask_b32_e64 v0, v0, v5, s[0:1]
	ds_bpermute_b32 v4, v19, v0
	v_lshlrev_b32_e32 v20, 2, v1
	s_waitcnt lgkmcnt(1)
	v_cmp_lt_f32_e64 s[0:1], v2, v3
	v_cndmask_b32_e64 v5, v2, v3, s[0:1]
	ds_bpermute_b32 v6, v20, v5
	s_waitcnt lgkmcnt(1)
	v_cmp_lt_f32_e64 s[0:1], v0, v4
	v_cndmask_b32_e64 v12, v0, v4, s[0:1]
	ds_read_b128 v[0:3], v13
	s_mov_b32 s2, 0x3fb8aa3b
	s_waitcnt lgkmcnt(1)
	v_cmp_lt_f32_e64 s[0:1], v5, v6
	v_cndmask_b32_e64 v10, v5, v6, s[0:1]
	ds_read_b128 v[4:7], v13 offset:16
	s_waitcnt lgkmcnt(1)
	v_pk_add_f32 v[0:1], v[0:1], v[10:11] op_sel_hi:[1,0] neg_lo:[0,1] neg_hi:[0,1]
	v_mul_f32_e32 v17, 0x3fb8aa3b, v1
	v_fma_f32 v21, v1, s2, -v17
	v_rndne_f32_e32 v22, v17
	ds_bpermute_b32 v16, v20, v12
	v_fmac_f32_e32 v21, 0x32a5705f, v1
	v_sub_f32_e32 v17, v17, v22
	v_add_f32_e32 v17, v17, v21
	v_exp_f32_e32 v17, v17
	v_cvt_i32_f32_e32 v21, v22
	s_waitcnt lgkmcnt(0)
	v_cmp_lt_f32_e64 s[0:1], v12, v16
	v_cndmask_b32_e64 v12, v12, v16, s[0:1]
	s_mov_b32 s3, 0xc2ce8ed0
	v_ldexp_f32 v16, v17, v21
	v_mul_f32_e32 v17, 0x3fb8aa3b, v0
	v_fma_f32 v21, v0, s2, -v17
	v_rndne_f32_e32 v22, v17
	v_fmac_f32_e32 v21, 0x32a5705f, v0
	v_sub_f32_e32 v17, v17, v22
	v_add_f32_e32 v17, v17, v21
	v_exp_f32_e32 v17, v17
	v_cvt_i32_f32_e32 v21, v22
	v_cmp_ngt_f32_e64 s[0:1], s3, v1
	s_mov_b32 s4, 0x42b17218
	v_cndmask_b32_e64 v16, 0, v16, s[0:1]
	v_mov_b32_e32 v22, 0x7f800000
	v_cmp_nlt_f32_e64 s[0:1], s4, v1
	v_pk_add_f32 v[2:3], v[2:3], v[10:11] op_sel_hi:[1,0] neg_lo:[0,1] neg_hi:[0,1]
	v_cndmask_b32_e64 v1, v22, v16, s[0:1]
	v_ldexp_f32 v16, v17, v21
	v_mul_f32_e32 v17, 0x3fb8aa3b, v3
	v_fma_f32 v21, v3, s2, -v17
	v_rndne_f32_e32 v23, v17
	v_fmac_f32_e32 v21, 0x32a5705f, v3
	v_sub_f32_e32 v17, v17, v23
	v_add_f32_e32 v17, v17, v21
	v_exp_f32_e32 v17, v17
	v_cvt_i32_f32_e32 v21, v23
	v_cmp_ngt_f32_e64 s[0:1], s3, v0
	v_cndmask_b32_e64 v16, 0, v16, s[0:1]
	v_cmp_nlt_f32_e64 s[0:1], s4, v0
	v_cndmask_b32_e64 v0, v22, v16, s[0:1]
	v_ldexp_f32 v16, v17, v21
	v_mul_f32_e32 v17, 0x3fb8aa3b, v2
	v_fma_f32 v21, v2, s2, -v17
	v_rndne_f32_e32 v23, v17
	v_fmac_f32_e32 v21, 0x32a5705f, v2
	v_sub_f32_e32 v17, v17, v23
	v_add_f32_e32 v17, v17, v21
	v_exp_f32_e32 v17, v17
	v_cvt_i32_f32_e32 v21, v23
	v_cmp_ngt_f32_e64 s[0:1], s3, v3
	v_cndmask_b32_e64 v16, 0, v16, s[0:1]
	v_cmp_nlt_f32_e64 s[0:1], s4, v3
	v_pk_add_f32 v[4:5], v[4:5], v[12:13] op_sel_hi:[1,0] neg_lo:[0,1] neg_hi:[0,1]
	v_cndmask_b32_e64 v3, v22, v16, s[0:1]
	v_ldexp_f32 v16, v17, v21
	v_mul_f32_e32 v17, 0x3fb8aa3b, v5
	v_fma_f32 v21, v5, s2, -v17
	v_rndne_f32_e32 v23, v17
	v_fmac_f32_e32 v21, 0x32a5705f, v5
	v_sub_f32_e32 v17, v17, v23
	v_add_f32_e32 v17, v17, v21
	v_exp_f32_e32 v17, v17
	v_cvt_i32_f32_e32 v21, v23
	v_cmp_ngt_f32_e64 s[0:1], s3, v2
	v_cndmask_b32_e64 v16, 0, v16, s[0:1]
	v_cmp_nlt_f32_e64 s[0:1], s4, v2
	v_cndmask_b32_e64 v2, v22, v16, s[0:1]
	v_ldexp_f32 v16, v17, v21
	v_mul_f32_e32 v17, 0x3fb8aa3b, v4
	v_fma_f32 v21, v4, s2, -v17
	v_rndne_f32_e32 v23, v17
	v_fmac_f32_e32 v21, 0x32a5705f, v4
	v_sub_f32_e32 v17, v17, v23
	v_add_f32_e32 v17, v17, v21
	v_exp_f32_e32 v17, v17
	v_cvt_i32_f32_e32 v21, v23
	v_cmp_ngt_f32_e64 s[0:1], s3, v5
	v_cndmask_b32_e64 v16, 0, v16, s[0:1]
	;; [unrolled: 27-line block ×3, first 2 shown]
	v_cmp_nlt_f32_e64 s[0:1], s4, v7
	v_cndmask_b32_e64 v7, v22, v16, s[0:1]
	v_ldexp_f32 v16, v17, v21
	v_cmp_ngt_f32_e64 s[0:1], s3, v6
	v_cndmask_b32_e64 v16, 0, v16, s[0:1]
	v_cmp_nlt_f32_e64 s[0:1], s4, v6
	v_cndmask_b32_e64 v6, v22, v16, s[0:1]
	ds_write_b128 v13, v[4:7] offset:16
	v_mov_b32_e32 v16, v0
	v_mov_b32_e32 v17, v4
	;; [unrolled: 1-line block ×3, first 2 shown]
	v_pk_add_f32 v[4:5], v[16:17], v[4:5]
	v_mov_b32_e32 v16, v2
	v_mov_b32_e32 v17, v6
	v_pk_add_f32 v[4:5], v[4:5], v[16:17]
	v_mov_b32_e32 v6, v3
	v_pk_add_f32 v[4:5], v[4:5], v[6:7]
	ds_bpermute_b32 v6, v9, v4
	ds_bpermute_b32 v7, v9, v5
	ds_write_b128 v13, v[0:3]
	s_waitcnt lgkmcnt(1)
	v_pk_add_f32 v[4:5], v[4:5], v[6:7]
	ds_bpermute_b32 v6, v11, v4
	ds_bpermute_b32 v7, v11, v5
	s_waitcnt lgkmcnt(0)
	v_pk_add_f32 v[4:5], v[4:5], v[6:7]
	ds_bpermute_b32 v6, v18, v4
	ds_bpermute_b32 v7, v18, v5
	;; [unrolled: 4-line block ×4, first 2 shown]
	s_and_saveexec_b64 s[0:1], vcc
	s_cbranch_execz .LBB7_25
; %bb.13:
	s_mov_b32 s0, 0xc61c4000
	v_cmp_eq_f32_e32 vcc, s0, v12
	v_ashrrev_i32_e32 v9, 31, v8
	v_cndmask_b32_e64 v1, 1.0, 0, vcc
	v_cmp_eq_f32_e32 vcc, s0, v10
	s_waitcnt lgkmcnt(0)
	v_pk_add_f32 v[2:3], v[4:5], v[6:7]
	v_lshlrev_b64 v[4:5], 1, v[8:9]
	v_cndmask_b32_e64 v0, 1.0, 0, vcc
	v_mov_b32_e32 v6, s17
	v_add_co_u32_e32 v4, vcc, s16, v4
	v_addc_co_u32_e32 v5, vcc, v5, v6, vcc
	v_add_co_u32_e32 v4, vcc, 4, v4
	s_ashr_i32 s15, s14, 31
	v_cmp_gt_i32_e64 s[0:1], s14, v15
	v_addc_co_u32_e32 v5, vcc, 0, v5, vcc
	s_lshl_b64 s[4:5], s[14:15], 1
	s_mov_b64 s[6:7], 0
	s_mov_b32 s14, 0x5040100
	s_mov_b64 s[8:9], 0
	s_branch .LBB7_16
.LBB7_14:                               ;   in Loop: Header=BB7_16 Depth=1
	s_or_b64 exec, exec, s[12:13]
	v_perm_b32 v9, v9, v10, s14
	v_perm_b32 v8, v7, v8, s14
	global_store_dwordx2 v[4:5], v[8:9], off offset:-4
.LBB7_15:                               ;   in Loop: Header=BB7_16 Depth=1
	s_or_b64 exec, exec, s[10:11]
	s_add_u32 s8, s8, 1
	s_addc_u32 s9, s9, 0
	v_cmp_eq_u32_e32 vcc, s8, v14
	v_mov_b32_e32 v6, s5
	s_or_b64 s[6:7], vcc, s[6:7]
	v_add_co_u32_e32 v4, vcc, s4, v4
	v_add_u32_e32 v13, 16, v13
	v_addc_co_u32_e32 v5, vcc, v5, v6, vcc
	s_andn2_b64 exec, exec, s[6:7]
	s_cbranch_execz .LBB7_25
.LBB7_16:                               ; =>This Inner Loop Header: Depth=1
	s_and_saveexec_b64 s[10:11], s[0:1]
	s_cbranch_execz .LBB7_15
; %bb.17:                               ;   in Loop: Header=BB7_16 Depth=1
	s_cmp_eq_u32 s8, 1
	s_cselect_b64 vcc, -1, 0
	v_cndmask_b32_e32 v6, v0, v1, vcc
	v_cmp_neq_f32_e64 s[2:3], 0, v6
	v_cndmask_b32_e32 v6, v2, v3, vcc
	v_mov_b32_e32 v7, 0
	v_mov_b32_e32 v8, 0
	s_and_saveexec_b64 s[12:13], s[2:3]
	s_cbranch_execz .LBB7_19
; %bb.18:                               ;   in Loop: Header=BB7_16 Depth=1
	ds_read_b32 v8, v13
	s_waitcnt lgkmcnt(0)
	v_div_scale_f32 v9, s[16:17], v6, v6, v8
	v_rcp_f32_e32 v10, v9
	v_div_scale_f32 v11, vcc, v8, v6, v8
	v_fma_f32 v12, -v9, v10, 1.0
	v_fmac_f32_e32 v10, v12, v10
	v_mul_f32_e32 v12, v11, v10
	v_fma_f32 v15, -v9, v12, v11
	v_fmac_f32_e32 v12, v15, v10
	v_fma_f32 v9, -v9, v12, v11
	v_div_fmas_f32 v9, v9, v10, v12
	v_div_fixup_f32 v8, v9, v6, v8
	v_cvt_f16_f32_e32 v8, v8
.LBB7_19:                               ;   in Loop: Header=BB7_16 Depth=1
	s_or_b64 exec, exec, s[12:13]
	s_and_saveexec_b64 s[12:13], s[2:3]
	s_cbranch_execz .LBB7_21
; %bb.20:                               ;   in Loop: Header=BB7_16 Depth=1
	ds_read_b32 v7, v13 offset:4
	s_waitcnt lgkmcnt(0)
	v_div_scale_f32 v9, s[16:17], v6, v6, v7
	v_rcp_f32_e32 v10, v9
	v_div_scale_f32 v11, vcc, v7, v6, v7
	v_fma_f32 v12, -v9, v10, 1.0
	v_fmac_f32_e32 v10, v12, v10
	v_mul_f32_e32 v12, v11, v10
	v_fma_f32 v15, -v9, v12, v11
	v_fmac_f32_e32 v12, v15, v10
	v_fma_f32 v9, -v9, v12, v11
	v_div_fmas_f32 v9, v9, v10, v12
	v_div_fixup_f32 v7, v9, v6, v7
	v_cvt_f16_f32_e32 v7, v7
.LBB7_21:                               ;   in Loop: Header=BB7_16 Depth=1
	s_or_b64 exec, exec, s[12:13]
	v_mov_b32_e32 v9, 0
	v_mov_b32_e32 v10, 0
	s_and_saveexec_b64 s[12:13], s[2:3]
	s_cbranch_execz .LBB7_23
; %bb.22:                               ;   in Loop: Header=BB7_16 Depth=1
	ds_read_b32 v10, v13 offset:8
	s_waitcnt lgkmcnt(0)
	v_div_scale_f32 v11, s[16:17], v6, v6, v10
	v_rcp_f32_e32 v12, v11
	v_div_scale_f32 v15, vcc, v10, v6, v10
	v_fma_f32 v16, -v11, v12, 1.0
	v_fmac_f32_e32 v12, v16, v12
	v_mul_f32_e32 v16, v15, v12
	v_fma_f32 v17, -v11, v16, v15
	v_fmac_f32_e32 v16, v17, v12
	v_fma_f32 v11, -v11, v16, v15
	v_div_fmas_f32 v11, v11, v12, v16
	v_div_fixup_f32 v10, v11, v6, v10
	v_cvt_f16_f32_e32 v10, v10
.LBB7_23:                               ;   in Loop: Header=BB7_16 Depth=1
	s_or_b64 exec, exec, s[12:13]
	s_and_saveexec_b64 s[12:13], s[2:3]
	s_cbranch_execz .LBB7_14
; %bb.24:                               ;   in Loop: Header=BB7_16 Depth=1
	ds_read_b32 v9, v13 offset:12
	s_waitcnt lgkmcnt(0)
	v_div_scale_f32 v11, s[2:3], v6, v6, v9
	v_rcp_f32_e32 v12, v11
	v_div_scale_f32 v15, vcc, v9, v6, v9
	v_fma_f32 v16, -v11, v12, 1.0
	v_fmac_f32_e32 v12, v16, v12
	v_mul_f32_e32 v16, v15, v12
	v_fma_f32 v17, -v11, v16, v15
	v_fmac_f32_e32 v16, v17, v12
	v_fma_f32 v11, -v11, v16, v15
	v_div_fmas_f32 v11, v11, v12, v16
	v_div_fixup_f32 v6, v11, v6, v9
	v_cvt_f16_f32_e32 v9, v6
	s_branch .LBB7_14
.LBB7_25:
	s_endpgm
	.section	.rodata,"a",@progbits
	.p2align	6, 0x0
	.amdhsa_kernel _Z34scaled_masked_softmax_warp_forwardI6__halfS0_fLi7EEvPT0_PKT_PKhT1_iii
		.amdhsa_group_segment_fixed_size 32768
		.amdhsa_private_segment_fixed_size 0
		.amdhsa_kernarg_size 296
		.amdhsa_user_sgpr_count 8
		.amdhsa_user_sgpr_private_segment_buffer 1
		.amdhsa_user_sgpr_dispatch_ptr 1
		.amdhsa_user_sgpr_queue_ptr 0
		.amdhsa_user_sgpr_kernarg_segment_ptr 1
		.amdhsa_user_sgpr_dispatch_id 0
		.amdhsa_user_sgpr_flat_scratch_init 0
		.amdhsa_user_sgpr_kernarg_preload_length 0
		.amdhsa_user_sgpr_kernarg_preload_offset 0
		.amdhsa_user_sgpr_private_segment_size 0
		.amdhsa_uses_dynamic_stack 0
		.amdhsa_system_sgpr_private_segment_wavefront_offset 0
		.amdhsa_system_sgpr_workgroup_id_x 1
		.amdhsa_system_sgpr_workgroup_id_y 1
		.amdhsa_system_sgpr_workgroup_id_z 1
		.amdhsa_system_sgpr_workgroup_info 0
		.amdhsa_system_vgpr_workitem_id 2
		.amdhsa_next_free_vgpr 24
		.amdhsa_next_free_sgpr 24
		.amdhsa_accum_offset 24
		.amdhsa_reserve_vcc 1
		.amdhsa_reserve_flat_scratch 0
		.amdhsa_float_round_mode_32 0
		.amdhsa_float_round_mode_16_64 0
		.amdhsa_float_denorm_mode_32 3
		.amdhsa_float_denorm_mode_16_64 3
		.amdhsa_dx10_clamp 1
		.amdhsa_ieee_mode 1
		.amdhsa_fp16_overflow 0
		.amdhsa_tg_split 0
		.amdhsa_exception_fp_ieee_invalid_op 0
		.amdhsa_exception_fp_denorm_src 0
		.amdhsa_exception_fp_ieee_div_zero 0
		.amdhsa_exception_fp_ieee_overflow 0
		.amdhsa_exception_fp_ieee_underflow 0
		.amdhsa_exception_fp_ieee_inexact 0
		.amdhsa_exception_int_div_zero 0
	.end_amdhsa_kernel
	.section	.text._Z34scaled_masked_softmax_warp_forwardI6__halfS0_fLi7EEvPT0_PKT_PKhT1_iii,"axG",@progbits,_Z34scaled_masked_softmax_warp_forwardI6__halfS0_fLi7EEvPT0_PKT_PKhT1_iii,comdat
.Lfunc_end7:
	.size	_Z34scaled_masked_softmax_warp_forwardI6__halfS0_fLi7EEvPT0_PKT_PKhT1_iii, .Lfunc_end7-_Z34scaled_masked_softmax_warp_forwardI6__halfS0_fLi7EEvPT0_PKT_PKhT1_iii
                                        ; -- End function
	.section	.AMDGPU.csdata,"",@progbits
; Kernel info:
; codeLenInByte = 2832
; NumSgprs: 28
; NumVgprs: 24
; NumAgprs: 0
; TotalNumVgprs: 24
; ScratchSize: 0
; MemoryBound: 0
; FloatMode: 240
; IeeeMode: 1
; LDSByteSize: 32768 bytes/workgroup (compile time only)
; SGPRBlocks: 3
; VGPRBlocks: 2
; NumSGPRsForWavesPerEU: 28
; NumVGPRsForWavesPerEU: 24
; AccumOffset: 24
; Occupancy: 8
; WaveLimiterHint : 0
; COMPUTE_PGM_RSRC2:SCRATCH_EN: 0
; COMPUTE_PGM_RSRC2:USER_SGPR: 8
; COMPUTE_PGM_RSRC2:TRAP_HANDLER: 0
; COMPUTE_PGM_RSRC2:TGID_X_EN: 1
; COMPUTE_PGM_RSRC2:TGID_Y_EN: 1
; COMPUTE_PGM_RSRC2:TGID_Z_EN: 1
; COMPUTE_PGM_RSRC2:TIDIG_COMP_CNT: 2
; COMPUTE_PGM_RSRC3_GFX90A:ACCUM_OFFSET: 5
; COMPUTE_PGM_RSRC3_GFX90A:TG_SPLIT: 0
	.section	.text._Z34scaled_masked_softmax_warp_forwardI6__halfS0_fLi8EEvPT0_PKT_PKhT1_iii,"axG",@progbits,_Z34scaled_masked_softmax_warp_forwardI6__halfS0_fLi8EEvPT0_PKT_PKhT1_iii,comdat
	.protected	_Z34scaled_masked_softmax_warp_forwardI6__halfS0_fLi8EEvPT0_PKT_PKhT1_iii ; -- Begin function _Z34scaled_masked_softmax_warp_forwardI6__halfS0_fLi8EEvPT0_PKT_PKhT1_iii
	.globl	_Z34scaled_masked_softmax_warp_forwardI6__halfS0_fLi8EEvPT0_PKT_PKhT1_iii
	.p2align	8
	.type	_Z34scaled_masked_softmax_warp_forwardI6__halfS0_fLi8EEvPT0_PKT_PKhT1_iii,@function
_Z34scaled_masked_softmax_warp_forwardI6__halfS0_fLi8EEvPT0_PKT_PKhT1_iii: ; @_Z34scaled_masked_softmax_warp_forwardI6__halfS0_fLi8EEvPT0_PKT_PKhT1_iii
; %bb.0:
	s_load_dword s2, s[4:5], 0x34
	s_load_dwordx4 s[12:15], s[4:5], 0x18
	s_load_dwordx2 s[0:1], s[4:5], 0x28
	s_mov_b32 s9, s6
	s_waitcnt lgkmcnt(0)
	s_lshr_b32 s2, s2, 16
	s_cmp_eq_u32 s15, 1
	s_cbranch_scc1 .LBB8_2
; %bb.1:
	s_mul_i32 s3, s0, s8
	s_add_i32 s9, s3, s6
.LBB8_2:
	s_mul_i32 s1, s1, s8
	s_add_i32 s1, s1, s7
	s_mul_i32 s0, s0, s1
	s_load_dwordx4 s[16:19], s[4:5], 0x0
	s_load_dwordx2 s[10:11], s[4:5], 0x10
	s_and_b32 s4, 0xffff, s2
	s_add_i32 s0, s0, s6
	s_mul_i32 s0, s0, s4
	v_bfe_u32 v4, v0, 10, 10
	v_and_b32_e32 v0, 0x3ff, v0
	v_add_u32_e32 v1, s0, v4
	v_lshlrev_b32_e32 v0, 2, v0
	v_mad_u64_u32 v[2:3], s[0:1], v1, s14, v[0:1]
	v_ashrrev_i32_e32 v3, 31, v2
	v_cmp_gt_i32_e32 vcc, s13, v1
	v_lshlrev_b64 v[2:3], 1, v[2:3]
                                        ; implicit-def: $vgpr11
                                        ; implicit-def: $vgpr13
                                        ; implicit-def: $vgpr9
                                        ; implicit-def: $vgpr1
                                        ; implicit-def: $vgpr12
                                        ; implicit-def: $vgpr14
                                        ; implicit-def: $vgpr10
                                        ; implicit-def: $vgpr8
	s_and_saveexec_b64 s[2:3], vcc
	s_cbranch_execz .LBB8_12
; %bb.3:
	s_mul_i32 s0, s9, s4
	v_add_u32_e32 v1, s0, v4
	s_waitcnt lgkmcnt(0)
	v_mov_b32_e32 v5, s19
	v_add_co_u32_e64 v4, s[0:1], s18, v2
	v_addc_co_u32_e64 v5, s[0:1], v5, v3, s[0:1]
	v_mad_u64_u32 v[6:7], s[0:1], v1, s14, v[0:1]
	v_ashrrev_i32_e32 v1, 31, v6
	v_mov_b32_e32 v7, s11
	v_add_co_u32_e64 v6, s[0:1], s10, v6
	v_addc_co_u32_e64 v7, s[0:1], v7, v1, s[0:1]
	v_cmp_gt_i32_e64 s[0:1], s14, v0
	v_mov_b32_e32 v11, 0xff800000
	v_mov_b32_e32 v13, 0xff800000
	;; [unrolled: 1-line block ×4, first 2 shown]
	s_and_saveexec_b64 s[4:5], s[0:1]
	s_cbranch_execz .LBB8_7
; %bb.4:
	global_load_dword v1, v[6:7], off
	global_load_dword v12, v[4:5], off offset:2
	global_load_ushort v9, v[4:5], off offset:6
	v_mov_b32_e32 v8, 1
	s_movk_i32 s6, 0xff
	v_mov_b32_e32 v10, 0xc61c4000
	v_mov_b32_e32 v11, 0xc61c4000
	s_waitcnt vmcnt(2)
	v_cmp_ne_u16_sdwa s[8:9], v1, v8 src0_sel:BYTE_0 src1_sel:DWORD
	s_and_saveexec_b64 s[0:1], s[8:9]
	s_cbranch_execz .LBB8_6
; %bb.5:
	global_load_ushort v11, v[4:5], off
	s_waitcnt vmcnt(0)
	v_cvt_f32_f16_e32 v11, v11
	v_mul_f32_e32 v11, s12, v11
.LBB8_6:
	s_or_b64 exec, exec, s[0:1]
	s_waitcnt vmcnt(1)
	v_cvt_f32_f16_e32 v13, v12
	v_cvt_f32_f16_sdwa v12, v12 dst_sel:DWORD dst_unused:UNUSED_PAD src0_sel:WORD_1
	s_waitcnt vmcnt(0)
	v_cvt_f32_f16_e32 v15, v9
	v_lshrrev_b32_e32 v14, 8, v1
	v_mul_f32_e32 v13, s12, v13
	v_cmp_ne_u16_sdwa s[0:1], v14, v8 src0_sel:BYTE_0 src1_sel:DWORD
	v_and_b32_sdwa v14, v1, s6 dst_sel:DWORD dst_unused:UNUSED_PAD src0_sel:WORD_1 src1_sel:DWORD
	v_cndmask_b32_e64 v13, v10, v13, s[0:1]
	v_mul_f32_e32 v9, s12, v12
	v_cmp_ne_u16_e64 s[0:1], 1, v14
	v_cndmask_b32_e64 v9, v10, v9, s[0:1]
	v_mul_f32_e32 v12, s12, v15
	v_cmp_ne_u16_sdwa s[0:1], v1, v8 src0_sel:BYTE_3 src1_sel:DWORD
	v_cndmask_b32_e64 v1, v10, v12, s[0:1]
.LBB8_7:
	s_or_b64 exec, exec, s[4:5]
	v_add_u32_e32 v8, 0x80, v0
	v_cmp_gt_i32_e64 s[0:1], s14, v8
	v_mov_b32_e32 v12, 0xff800000
	v_mov_b32_e32 v14, 0xff800000
	;; [unrolled: 1-line block ×4, first 2 shown]
	s_and_saveexec_b64 s[4:5], s[0:1]
	s_cbranch_execz .LBB8_11
; %bb.8:
	global_load_dword v8, v[6:7], off offset:128
	global_load_dword v14, v[4:5], off offset:258
	global_load_ushort v10, v[4:5], off offset:262
	v_mov_b32_e32 v6, 1
	s_movk_i32 s6, 0xff
	v_mov_b32_e32 v7, 0xc61c4000
	v_mov_b32_e32 v12, 0xc61c4000
	s_waitcnt vmcnt(2)
	v_cmp_ne_u16_sdwa s[8:9], v8, v6 src0_sel:BYTE_0 src1_sel:DWORD
	s_and_saveexec_b64 s[0:1], s[8:9]
	s_cbranch_execz .LBB8_10
; %bb.9:
	global_load_ushort v4, v[4:5], off offset:256
	s_waitcnt vmcnt(0)
	v_cvt_f32_f16_e32 v4, v4
	v_mul_f32_e32 v12, s12, v4
.LBB8_10:
	s_or_b64 exec, exec, s[0:1]
	s_waitcnt vmcnt(1)
	v_cvt_f32_f16_e32 v4, v14
	v_lshrrev_b32_e32 v5, 8, v8
	v_cvt_f32_f16_sdwa v15, v14 dst_sel:DWORD dst_unused:UNUSED_PAD src0_sel:WORD_1
	v_cmp_ne_u16_sdwa s[0:1], v5, v6 src0_sel:BYTE_0 src1_sel:DWORD
	s_waitcnt vmcnt(0)
	v_cvt_f32_f16_e32 v5, v10
	v_mul_f32_e32 v4, s12, v4
	v_cndmask_b32_e64 v14, v7, v4, s[0:1]
	v_and_b32_sdwa v4, v8, s6 dst_sel:DWORD dst_unused:UNUSED_PAD src0_sel:WORD_1 src1_sel:DWORD
	v_mul_f32_e32 v10, s12, v15
	v_cmp_ne_u16_e64 s[0:1], 1, v4
	v_cndmask_b32_e64 v10, v7, v10, s[0:1]
	v_mul_f32_e32 v4, s12, v5
	v_cmp_ne_u16_sdwa s[0:1], v8, v6 src0_sel:BYTE_3 src1_sel:DWORD
	v_cndmask_b32_e64 v8, v7, v4, s[0:1]
.LBB8_11:
	s_or_b64 exec, exec, s[4:5]
.LBB8_12:
	s_or_b64 exec, exec, s[2:3]
	v_cmp_gt_f32_e64 s[0:1], v11, v13
	v_cndmask_b32_e64 v4, v13, v11, s[0:1]
	v_cmp_gt_f32_e64 s[0:1], v4, v9
	v_cndmask_b32_e64 v4, v9, v4, s[0:1]
	;; [unrolled: 2-line block ×5, first 2 shown]
	v_mbcnt_lo_u32_b32 v5, -1, 0
	v_cmp_gt_f32_e64 s[0:1], v4, v10
	v_mbcnt_hi_u32_b32 v5, -1, v5
	v_cndmask_b32_e64 v4, v10, v4, s[0:1]
	v_and_b32_e32 v6, 0x60, v5
	v_cmp_gt_f32_e64 s[0:1], v4, v8
	v_add_u32_e32 v6, 32, v6
	v_xor_b32_e32 v7, 16, v5
	v_cndmask_b32_e64 v4, v8, v4, s[0:1]
	v_cmp_lt_i32_e64 s[0:1], v7, v6
	v_cndmask_b32_e64 v7, v5, v7, s[0:1]
	v_lshlrev_b32_e32 v16, 2, v7
	ds_bpermute_b32 v7, v16, v4
	s_mov_b32 s2, 0x3fb8aa3b
	s_mov_b32 s3, 0xc2ce8ed0
	;; [unrolled: 1-line block ×3, first 2 shown]
	v_mov_b32_e32 v21, 0x7f800000
	s_waitcnt lgkmcnt(0)
	v_cmp_lt_f32_e64 s[0:1], v4, v7
	v_cndmask_b32_e64 v4, v4, v7, s[0:1]
	v_xor_b32_e32 v7, 8, v5
	v_cmp_lt_i32_e64 s[0:1], v7, v6
	v_cndmask_b32_e64 v7, v5, v7, s[0:1]
	v_lshlrev_b32_e32 v17, 2, v7
	ds_bpermute_b32 v7, v17, v4
	s_waitcnt lgkmcnt(0)
	v_cmp_lt_f32_e64 s[0:1], v4, v7
	v_cndmask_b32_e64 v4, v4, v7, s[0:1]
	v_xor_b32_e32 v7, 4, v5
	v_cmp_lt_i32_e64 s[0:1], v7, v6
	v_cndmask_b32_e64 v7, v5, v7, s[0:1]
	v_lshlrev_b32_e32 v18, 2, v7
	ds_bpermute_b32 v7, v18, v4
	;; [unrolled: 8-line block ×4, first 2 shown]
	s_waitcnt lgkmcnt(0)
	v_cmp_lt_f32_e64 s[0:1], v4, v5
	v_cndmask_b32_e64 v4, v4, v5, s[0:1]
	v_sub_f32_e32 v5, v11, v4
	v_mul_f32_e32 v6, 0x3fb8aa3b, v5
	v_fma_f32 v7, v5, s2, -v6
	v_rndne_f32_e32 v11, v6
	v_fmac_f32_e32 v7, 0x32a5705f, v5
	v_sub_f32_e32 v6, v6, v11
	v_add_f32_e32 v6, v6, v7
	v_exp_f32_e32 v6, v6
	v_cvt_i32_f32_e32 v7, v11
	v_cmp_ngt_f32_e64 s[0:1], s3, v5
	v_sub_f32_e32 v1, v1, v4
	v_sub_f32_e32 v10, v10, v4
	v_ldexp_f32 v6, v6, v7
	v_sub_f32_e32 v7, v13, v4
	v_mul_f32_e32 v11, 0x3fb8aa3b, v7
	v_fma_f32 v13, v7, s2, -v11
	v_rndne_f32_e32 v15, v11
	v_fmac_f32_e32 v13, 0x32a5705f, v7
	v_sub_f32_e32 v11, v11, v15
	v_add_f32_e32 v11, v11, v13
	v_exp_f32_e32 v11, v11
	v_cvt_i32_f32_e32 v13, v15
	v_cndmask_b32_e64 v6, 0, v6, s[0:1]
	v_cmp_nlt_f32_e64 s[0:1], s4, v5
	v_cndmask_b32_e64 v15, v21, v6, s[0:1]
	v_sub_f32_e32 v6, v9, v4
	v_mul_f32_e32 v9, 0x3fb8aa3b, v6
	v_ldexp_f32 v5, v11, v13
	v_fma_f32 v11, v6, s2, -v9
	v_rndne_f32_e32 v13, v9
	v_fmac_f32_e32 v11, 0x32a5705f, v6
	v_sub_f32_e32 v9, v9, v13
	v_add_f32_e32 v9, v9, v11
	v_exp_f32_e32 v9, v9
	v_cvt_i32_f32_e32 v11, v13
	v_cmp_ngt_f32_e64 s[0:1], s3, v7
	v_cndmask_b32_e64 v5, 0, v5, s[0:1]
	v_cmp_nlt_f32_e64 s[0:1], s4, v7
	v_ldexp_f32 v7, v9, v11
	v_mul_f32_e32 v9, 0x3fb8aa3b, v1
	v_fma_f32 v11, v1, s2, -v9
	v_rndne_f32_e32 v22, v9
	v_fmac_f32_e32 v11, 0x32a5705f, v1
	v_sub_f32_e32 v9, v9, v22
	v_add_f32_e32 v9, v9, v11
	v_exp_f32_e32 v9, v9
	v_cvt_i32_f32_e32 v22, v22
	v_cndmask_b32_e64 v13, v21, v5, s[0:1]
	v_cmp_ngt_f32_e64 s[0:1], s3, v6
	v_cndmask_b32_e64 v7, 0, v7, s[0:1]
	v_cmp_nlt_f32_e64 s[0:1], s4, v6
	v_cndmask_b32_e64 v11, v21, v7, s[0:1]
	v_sub_f32_e32 v7, v12, v4
	v_ldexp_f32 v6, v9, v22
	v_mul_f32_e32 v9, 0x3fb8aa3b, v7
	v_fma_f32 v12, v7, s2, -v9
	v_rndne_f32_e32 v22, v9
	v_fmac_f32_e32 v12, 0x32a5705f, v7
	v_sub_f32_e32 v9, v9, v22
	v_add_f32_e32 v9, v9, v12
	v_exp_f32_e32 v12, v9
	v_cvt_i32_f32_e32 v22, v22
	v_cmp_ngt_f32_e64 s[0:1], s3, v1
	v_add_f32_e32 v5, v15, v13
	v_cndmask_b32_e64 v6, 0, v6, s[0:1]
	v_cmp_nlt_f32_e64 s[0:1], s4, v1
	v_add_f32_e32 v5, v5, v11
	v_cndmask_b32_e64 v9, v21, v6, s[0:1]
	v_sub_f32_e32 v6, v14, v4
	v_add_f32_e32 v1, v5, v9
	v_ldexp_f32 v5, v12, v22
	v_mul_f32_e32 v12, 0x3fb8aa3b, v6
	v_fma_f32 v14, v6, s2, -v12
	v_rndne_f32_e32 v22, v12
	v_fmac_f32_e32 v14, 0x32a5705f, v6
	v_sub_f32_e32 v12, v12, v22
	v_add_f32_e32 v12, v12, v14
	v_exp_f32_e32 v12, v12
	v_cvt_i32_f32_e32 v14, v22
	v_cmp_ngt_f32_e64 s[0:1], s3, v7
	v_cndmask_b32_e64 v5, 0, v5, s[0:1]
	v_cmp_nlt_f32_e64 s[0:1], s4, v7
	v_cndmask_b32_e64 v7, v21, v5, s[0:1]
	v_ldexp_f32 v5, v12, v14
	v_mul_f32_e32 v12, 0x3fb8aa3b, v10
	v_fma_f32 v14, v10, s2, -v12
	v_rndne_f32_e32 v22, v12
	v_fmac_f32_e32 v14, 0x32a5705f, v10
	v_sub_f32_e32 v12, v12, v22
	v_add_f32_e32 v12, v12, v14
	v_exp_f32_e32 v12, v12
	v_cvt_i32_f32_e32 v14, v22
	v_cmp_ngt_f32_e64 s[0:1], s3, v6
	v_cndmask_b32_e64 v5, 0, v5, s[0:1]
	v_cmp_nlt_f32_e64 s[0:1], s4, v6
	v_sub_f32_e32 v8, v8, v4
	v_cndmask_b32_e64 v6, v21, v5, s[0:1]
	v_ldexp_f32 v5, v12, v14
	v_mul_f32_e32 v12, 0x3fb8aa3b, v8
	v_fma_f32 v14, v8, s2, -v12
	v_rndne_f32_e32 v22, v12
	v_fmac_f32_e32 v14, 0x32a5705f, v8
	v_sub_f32_e32 v12, v12, v22
	v_add_f32_e32 v12, v12, v14
	v_exp_f32_e32 v12, v12
	v_cvt_i32_f32_e32 v14, v22
	v_cmp_ngt_f32_e64 s[0:1], s3, v10
	v_add_f32_e32 v1, v1, v7
	v_cndmask_b32_e64 v5, 0, v5, s[0:1]
	v_cmp_nlt_f32_e64 s[0:1], s4, v10
	v_add_f32_e32 v1, v1, v6
	v_cndmask_b32_e64 v5, v21, v5, s[0:1]
	v_add_f32_e32 v10, v1, v5
	v_ldexp_f32 v1, v12, v14
	v_cmp_ngt_f32_e64 s[0:1], s3, v8
	v_cndmask_b32_e64 v1, 0, v1, s[0:1]
	v_cmp_nlt_f32_e64 s[0:1], s4, v8
	v_cndmask_b32_e64 v1, v21, v1, s[0:1]
	v_add_f32_e32 v8, v10, v1
	ds_bpermute_b32 v10, v16, v8
	v_cmp_gt_i32_e64 s[0:1], s14, v0
	s_and_b64 s[0:1], vcc, s[0:1]
	s_waitcnt lgkmcnt(0)
	v_add_f32_e32 v8, v8, v10
	ds_bpermute_b32 v10, v17, v8
	s_waitcnt lgkmcnt(0)
	v_add_f32_e32 v8, v8, v10
	ds_bpermute_b32 v10, v18, v8
	;; [unrolled: 3-line block ×4, first 2 shown]
	s_and_saveexec_b64 s[2:3], s[0:1]
	s_cbranch_execz .LBB8_31
; %bb.13:
	s_mov_b32 s0, 0xc61c4000
	v_cmp_neq_f32_e64 s[0:1], s0, v4
	s_waitcnt lgkmcnt(0)
	v_add_f32_e32 v4, v8, v10
	v_mov_b32_e32 v8, 0
	v_mov_b32_e32 v10, 0
	s_and_saveexec_b64 s[2:3], s[0:1]
	s_cbranch_execz .LBB8_15
; %bb.14:
	v_div_scale_f32 v10, s[4:5], v4, v4, v15
	v_rcp_f32_e32 v12, v10
	v_div_scale_f32 v14, vcc, v15, v4, v15
	v_fma_f32 v16, -v10, v12, 1.0
	v_fmac_f32_e32 v12, v16, v12
	v_mul_f32_e32 v16, v14, v12
	v_fma_f32 v17, -v10, v16, v14
	v_fmac_f32_e32 v16, v17, v12
	v_fma_f32 v10, -v10, v16, v14
	v_div_fmas_f32 v10, v10, v12, v16
	v_div_fixup_f32 v10, v10, v4, v15
	v_cvt_f16_f32_e32 v10, v10
.LBB8_15:
	s_or_b64 exec, exec, s[2:3]
	s_and_saveexec_b64 s[2:3], s[0:1]
	s_cbranch_execz .LBB8_17
; %bb.16:
	v_div_scale_f32 v8, s[4:5], v4, v4, v13
	v_rcp_f32_e32 v12, v8
	v_div_scale_f32 v14, vcc, v13, v4, v13
	v_fma_f32 v15, -v8, v12, 1.0
	v_fmac_f32_e32 v12, v15, v12
	v_mul_f32_e32 v15, v14, v12
	v_fma_f32 v16, -v8, v15, v14
	v_fmac_f32_e32 v15, v16, v12
	v_fma_f32 v8, -v8, v15, v14
	v_div_fmas_f32 v8, v8, v12, v15
	v_div_fixup_f32 v8, v8, v4, v13
	v_cvt_f16_f32_e32 v8, v8
.LBB8_17:
	s_or_b64 exec, exec, s[2:3]
	v_mov_b32_e32 v12, 0
	v_mov_b32_e32 v13, 0
	s_and_saveexec_b64 s[2:3], s[0:1]
	s_cbranch_execz .LBB8_19
; %bb.18:
	v_div_scale_f32 v13, s[4:5], v4, v4, v11
	v_rcp_f32_e32 v14, v13
	v_div_scale_f32 v15, vcc, v11, v4, v11
	v_fma_f32 v16, -v13, v14, 1.0
	v_fmac_f32_e32 v14, v16, v14
	v_mul_f32_e32 v16, v15, v14
	v_fma_f32 v17, -v13, v16, v15
	v_fmac_f32_e32 v16, v17, v14
	v_fma_f32 v13, -v13, v16, v15
	v_div_fmas_f32 v13, v13, v14, v16
	v_div_fixup_f32 v11, v13, v4, v11
	v_cvt_f16_f32_e32 v13, v11
.LBB8_19:
	s_or_b64 exec, exec, s[2:3]
	s_and_saveexec_b64 s[2:3], s[0:1]
	s_cbranch_execz .LBB8_21
; %bb.20:
	v_div_scale_f32 v11, s[4:5], v4, v4, v9
	v_rcp_f32_e32 v12, v11
	v_div_scale_f32 v14, vcc, v9, v4, v9
	v_fma_f32 v15, -v11, v12, 1.0
	v_fmac_f32_e32 v12, v15, v12
	v_mul_f32_e32 v15, v14, v12
	v_fma_f32 v16, -v11, v15, v14
	v_fmac_f32_e32 v15, v16, v12
	v_fma_f32 v11, -v11, v15, v14
	v_div_fmas_f32 v11, v11, v12, v15
	v_div_fixup_f32 v9, v11, v4, v9
	v_cvt_f16_f32_e32 v12, v9
.LBB8_21:
	s_or_b64 exec, exec, s[2:3]
	v_mov_b32_e32 v9, s17
	v_add_co_u32_e32 v2, vcc, s16, v2
	v_addc_co_u32_e32 v3, vcc, v9, v3, vcc
	s_mov_b32 s2, 0x5040100
	v_add_u32_e32 v0, 0x80, v0
	v_perm_b32 v9, v12, v13, s2
	v_perm_b32 v8, v8, v10, s2
	v_cmp_gt_u32_e32 vcc, s14, v0
	global_store_dwordx2 v[2:3], v[8:9], off
	s_and_b64 exec, exec, vcc
	s_cbranch_execz .LBB8_31
; %bb.22:
	v_mov_b32_e32 v0, 0
	v_mov_b32_e32 v8, 0
	s_and_saveexec_b64 s[2:3], s[0:1]
	s_cbranch_execz .LBB8_24
; %bb.23:
	v_div_scale_f32 v8, s[4:5], v4, v4, v7
	v_rcp_f32_e32 v9, v8
	v_div_scale_f32 v10, vcc, v7, v4, v7
	v_fma_f32 v11, -v8, v9, 1.0
	v_fmac_f32_e32 v9, v11, v9
	v_mul_f32_e32 v11, v10, v9
	v_fma_f32 v12, -v8, v11, v10
	v_fmac_f32_e32 v11, v12, v9
	v_fma_f32 v8, -v8, v11, v10
	v_div_fmas_f32 v8, v8, v9, v11
	v_div_fixup_f32 v7, v8, v4, v7
	v_cvt_f16_f32_e32 v8, v7
.LBB8_24:
	s_or_b64 exec, exec, s[2:3]
	s_and_saveexec_b64 s[2:3], s[0:1]
	s_cbranch_execz .LBB8_26
; %bb.25:
	v_div_scale_f32 v0, s[4:5], v4, v4, v6
	v_rcp_f32_e32 v7, v0
	v_div_scale_f32 v9, vcc, v6, v4, v6
	v_fma_f32 v10, -v0, v7, 1.0
	v_fmac_f32_e32 v7, v10, v7
	v_mul_f32_e32 v10, v9, v7
	v_fma_f32 v11, -v0, v10, v9
	v_fmac_f32_e32 v10, v11, v7
	v_fma_f32 v0, -v0, v10, v9
	v_div_fmas_f32 v0, v0, v7, v10
	v_div_fixup_f32 v0, v0, v4, v6
	v_cvt_f16_f32_e32 v0, v0
.LBB8_26:
	s_or_b64 exec, exec, s[2:3]
	v_mov_b32_e32 v6, 0
	v_mov_b32_e32 v7, 0
	s_and_saveexec_b64 s[2:3], s[0:1]
	s_cbranch_execz .LBB8_28
; %bb.27:
	v_div_scale_f32 v7, s[4:5], v4, v4, v5
	v_rcp_f32_e32 v9, v7
	v_div_scale_f32 v10, vcc, v5, v4, v5
	v_fma_f32 v11, -v7, v9, 1.0
	v_fmac_f32_e32 v9, v11, v9
	v_mul_f32_e32 v11, v10, v9
	v_fma_f32 v12, -v7, v11, v10
	v_fmac_f32_e32 v11, v12, v9
	v_fma_f32 v7, -v7, v11, v10
	v_div_fmas_f32 v7, v7, v9, v11
	v_div_fixup_f32 v5, v7, v4, v5
	v_cvt_f16_f32_e32 v7, v5
.LBB8_28:
	s_or_b64 exec, exec, s[2:3]
	s_and_saveexec_b64 s[2:3], s[0:1]
	s_cbranch_execz .LBB8_30
; %bb.29:
	v_div_scale_f32 v5, s[0:1], v4, v4, v1
	v_rcp_f32_e32 v6, v5
	v_div_scale_f32 v9, vcc, v1, v4, v1
	v_fma_f32 v10, -v5, v6, 1.0
	v_fmac_f32_e32 v6, v10, v6
	v_mul_f32_e32 v10, v9, v6
	v_fma_f32 v11, -v5, v10, v9
	v_fmac_f32_e32 v10, v11, v6
	v_fma_f32 v5, -v5, v10, v9
	v_div_fmas_f32 v5, v5, v6, v10
	v_div_fixup_f32 v1, v5, v4, v1
	v_cvt_f16_f32_e32 v6, v1
.LBB8_30:
	s_or_b64 exec, exec, s[2:3]
	s_mov_b32 s0, 0x5040100
	v_perm_b32 v1, v6, v7, s0
	v_perm_b32 v0, v0, v8, s0
	global_store_dwordx2 v[2:3], v[0:1], off offset:256
.LBB8_31:
	s_endpgm
	.section	.rodata,"a",@progbits
	.p2align	6, 0x0
	.amdhsa_kernel _Z34scaled_masked_softmax_warp_forwardI6__halfS0_fLi8EEvPT0_PKT_PKhT1_iii
		.amdhsa_group_segment_fixed_size 0
		.amdhsa_private_segment_fixed_size 0
		.amdhsa_kernarg_size 296
		.amdhsa_user_sgpr_count 6
		.amdhsa_user_sgpr_private_segment_buffer 1
		.amdhsa_user_sgpr_dispatch_ptr 0
		.amdhsa_user_sgpr_queue_ptr 0
		.amdhsa_user_sgpr_kernarg_segment_ptr 1
		.amdhsa_user_sgpr_dispatch_id 0
		.amdhsa_user_sgpr_flat_scratch_init 0
		.amdhsa_user_sgpr_kernarg_preload_length 0
		.amdhsa_user_sgpr_kernarg_preload_offset 0
		.amdhsa_user_sgpr_private_segment_size 0
		.amdhsa_uses_dynamic_stack 0
		.amdhsa_system_sgpr_private_segment_wavefront_offset 0
		.amdhsa_system_sgpr_workgroup_id_x 1
		.amdhsa_system_sgpr_workgroup_id_y 1
		.amdhsa_system_sgpr_workgroup_id_z 1
		.amdhsa_system_sgpr_workgroup_info 0
		.amdhsa_system_vgpr_workitem_id 1
		.amdhsa_next_free_vgpr 23
		.amdhsa_next_free_sgpr 20
		.amdhsa_accum_offset 24
		.amdhsa_reserve_vcc 1
		.amdhsa_reserve_flat_scratch 0
		.amdhsa_float_round_mode_32 0
		.amdhsa_float_round_mode_16_64 0
		.amdhsa_float_denorm_mode_32 3
		.amdhsa_float_denorm_mode_16_64 3
		.amdhsa_dx10_clamp 1
		.amdhsa_ieee_mode 1
		.amdhsa_fp16_overflow 0
		.amdhsa_tg_split 0
		.amdhsa_exception_fp_ieee_invalid_op 0
		.amdhsa_exception_fp_denorm_src 0
		.amdhsa_exception_fp_ieee_div_zero 0
		.amdhsa_exception_fp_ieee_overflow 0
		.amdhsa_exception_fp_ieee_underflow 0
		.amdhsa_exception_fp_ieee_inexact 0
		.amdhsa_exception_int_div_zero 0
	.end_amdhsa_kernel
	.section	.text._Z34scaled_masked_softmax_warp_forwardI6__halfS0_fLi8EEvPT0_PKT_PKhT1_iii,"axG",@progbits,_Z34scaled_masked_softmax_warp_forwardI6__halfS0_fLi8EEvPT0_PKT_PKhT1_iii,comdat
.Lfunc_end8:
	.size	_Z34scaled_masked_softmax_warp_forwardI6__halfS0_fLi8EEvPT0_PKT_PKhT1_iii, .Lfunc_end8-_Z34scaled_masked_softmax_warp_forwardI6__halfS0_fLi8EEvPT0_PKT_PKhT1_iii
                                        ; -- End function
	.section	.AMDGPU.csdata,"",@progbits
; Kernel info:
; codeLenInByte = 2824
; NumSgprs: 24
; NumVgprs: 23
; NumAgprs: 0
; TotalNumVgprs: 23
; ScratchSize: 0
; MemoryBound: 0
; FloatMode: 240
; IeeeMode: 1
; LDSByteSize: 0 bytes/workgroup (compile time only)
; SGPRBlocks: 2
; VGPRBlocks: 2
; NumSGPRsForWavesPerEU: 24
; NumVGPRsForWavesPerEU: 23
; AccumOffset: 24
; Occupancy: 8
; WaveLimiterHint : 0
; COMPUTE_PGM_RSRC2:SCRATCH_EN: 0
; COMPUTE_PGM_RSRC2:USER_SGPR: 6
; COMPUTE_PGM_RSRC2:TRAP_HANDLER: 0
; COMPUTE_PGM_RSRC2:TGID_X_EN: 1
; COMPUTE_PGM_RSRC2:TGID_Y_EN: 1
; COMPUTE_PGM_RSRC2:TGID_Z_EN: 1
; COMPUTE_PGM_RSRC2:TIDIG_COMP_CNT: 1
; COMPUTE_PGM_RSRC3_GFX90A:ACCUM_OFFSET: 5
; COMPUTE_PGM_RSRC3_GFX90A:TG_SPLIT: 0
	.section	.text._Z34scaled_masked_softmax_warp_forwardI6__halfS0_fLi9EEvPT0_PKT_PKhT1_iii,"axG",@progbits,_Z34scaled_masked_softmax_warp_forwardI6__halfS0_fLi9EEvPT0_PKT_PKhT1_iii,comdat
	.protected	_Z34scaled_masked_softmax_warp_forwardI6__halfS0_fLi9EEvPT0_PKT_PKhT1_iii ; -- Begin function _Z34scaled_masked_softmax_warp_forwardI6__halfS0_fLi9EEvPT0_PKT_PKhT1_iii
	.globl	_Z34scaled_masked_softmax_warp_forwardI6__halfS0_fLi9EEvPT0_PKT_PKhT1_iii
	.p2align	8
	.type	_Z34scaled_masked_softmax_warp_forwardI6__halfS0_fLi9EEvPT0_PKT_PKhT1_iii,@function
_Z34scaled_masked_softmax_warp_forwardI6__halfS0_fLi9EEvPT0_PKT_PKhT1_iii: ; @_Z34scaled_masked_softmax_warp_forwardI6__halfS0_fLi9EEvPT0_PKT_PKhT1_iii
; %bb.0:
	s_load_dword s2, s[4:5], 0x34
	s_load_dwordx4 s[12:15], s[4:5], 0x18
	s_load_dwordx2 s[0:1], s[4:5], 0x28
	s_mov_b32 s9, s6
	s_waitcnt lgkmcnt(0)
	s_lshr_b32 s2, s2, 16
	s_cmp_eq_u32 s15, 1
	s_cbranch_scc1 .LBB9_2
; %bb.1:
	s_mul_i32 s3, s0, s8
	s_add_i32 s9, s3, s6
.LBB9_2:
	s_mul_i32 s1, s1, s8
	s_add_i32 s1, s1, s7
	s_mul_i32 s0, s0, s1
	s_load_dwordx4 s[16:19], s[4:5], 0x0
	s_load_dwordx2 s[10:11], s[4:5], 0x10
	s_and_b32 s4, 0xffff, s2
	s_add_i32 s0, s0, s6
	s_mul_i32 s0, s0, s4
	v_bfe_u32 v4, v0, 10, 10
	v_and_b32_e32 v0, 0x3ff, v0
	v_add_u32_e32 v1, s0, v4
	v_lshlrev_b32_e32 v0, 2, v0
	v_mad_u64_u32 v[2:3], s[0:1], v1, s14, v[0:1]
	v_ashrrev_i32_e32 v3, 31, v2
	v_cmp_gt_i32_e32 vcc, s13, v1
	v_lshlrev_b64 v[2:3], 1, v[2:3]
                                        ; implicit-def: $vgpr13
                                        ; implicit-def: $vgpr19
                                        ; implicit-def: $vgpr10
                                        ; implicit-def: $vgpr1
                                        ; implicit-def: $vgpr16
                                        ; implicit-def: $vgpr20
                                        ; implicit-def: $vgpr11
                                        ; implicit-def: $vgpr8
                                        ; implicit-def: $vgpr17
                                        ; implicit-def: $vgpr21
                                        ; implicit-def: $vgpr14
                                        ; implicit-def: $vgpr9
                                        ; implicit-def: $vgpr18
                                        ; implicit-def: $vgpr22
                                        ; implicit-def: $vgpr15
                                        ; implicit-def: $vgpr12
	s_and_saveexec_b64 s[2:3], vcc
	s_cbranch_execz .LBB9_20
; %bb.3:
	s_mul_i32 s0, s9, s4
	v_add_u32_e32 v1, s0, v4
	s_waitcnt lgkmcnt(0)
	v_mov_b32_e32 v5, s19
	v_add_co_u32_e64 v4, s[0:1], s18, v2
	v_addc_co_u32_e64 v5, s[0:1], v5, v3, s[0:1]
	v_mad_u64_u32 v[6:7], s[0:1], v1, s14, v[0:1]
	v_ashrrev_i32_e32 v1, 31, v6
	v_mov_b32_e32 v7, s11
	v_add_co_u32_e64 v6, s[0:1], s10, v6
	v_addc_co_u32_e64 v7, s[0:1], v7, v1, s[0:1]
	v_cmp_gt_i32_e64 s[0:1], s14, v0
	v_mov_b32_e32 v13, 0xff800000
	v_mov_b32_e32 v19, 0xff800000
	;; [unrolled: 1-line block ×4, first 2 shown]
	s_and_saveexec_b64 s[4:5], s[0:1]
	s_cbranch_execz .LBB9_7
; %bb.4:
	global_load_dword v1, v[6:7], off
	global_load_dword v11, v[4:5], off offset:2
	global_load_ushort v10, v[4:5], off offset:6
	v_mov_b32_e32 v8, 1
	s_movk_i32 s6, 0xff
	v_mov_b32_e32 v9, 0xc61c4000
	v_mov_b32_e32 v13, 0xc61c4000
	s_waitcnt vmcnt(2)
	v_cmp_ne_u16_sdwa s[8:9], v1, v8 src0_sel:BYTE_0 src1_sel:DWORD
	s_and_saveexec_b64 s[0:1], s[8:9]
	s_cbranch_execz .LBB9_6
; %bb.5:
	global_load_ushort v12, v[4:5], off
	s_waitcnt vmcnt(0)
	v_cvt_f32_f16_e32 v12, v12
	v_mul_f32_e32 v13, s12, v12
.LBB9_6:
	s_or_b64 exec, exec, s[0:1]
	s_waitcnt vmcnt(1)
	v_cvt_f32_f16_e32 v12, v11
	v_lshrrev_b32_e32 v14, 8, v1
	v_cvt_f32_f16_sdwa v11, v11 dst_sel:DWORD dst_unused:UNUSED_PAD src0_sel:WORD_1
	v_cmp_ne_u16_sdwa s[0:1], v14, v8 src0_sel:BYTE_0 src1_sel:DWORD
	s_waitcnt vmcnt(0)
	v_cvt_f32_f16_e32 v14, v10
	v_mul_f32_e32 v12, s12, v12
	v_cndmask_b32_e64 v19, v9, v12, s[0:1]
	v_and_b32_sdwa v12, v1, s6 dst_sel:DWORD dst_unused:UNUSED_PAD src0_sel:WORD_1 src1_sel:DWORD
	v_mul_f32_e32 v10, s12, v11
	v_cmp_ne_u16_e64 s[0:1], 1, v12
	v_cndmask_b32_e64 v10, v9, v10, s[0:1]
	v_mul_f32_e32 v11, s12, v14
	v_cmp_ne_u16_sdwa s[0:1], v1, v8 src0_sel:BYTE_3 src1_sel:DWORD
	v_cndmask_b32_e64 v1, v9, v11, s[0:1]
.LBB9_7:
	s_or_b64 exec, exec, s[4:5]
	v_add_u32_e32 v8, 0x80, v0
	v_cmp_gt_i32_e64 s[0:1], s14, v8
	v_mov_b32_e32 v16, 0xff800000
	v_mov_b32_e32 v20, 0xff800000
	;; [unrolled: 1-line block ×4, first 2 shown]
	s_and_saveexec_b64 s[4:5], s[0:1]
	s_cbranch_execz .LBB9_11
; %bb.8:
	global_load_dword v8, v[6:7], off offset:128
	global_load_dword v14, v[4:5], off offset:258
	global_load_ushort v11, v[4:5], off offset:262
	v_mov_b32_e32 v9, 1
	s_movk_i32 s6, 0xff
	v_mov_b32_e32 v12, 0xc61c4000
	v_mov_b32_e32 v16, 0xc61c4000
	s_waitcnt vmcnt(2)
	v_cmp_ne_u16_sdwa s[8:9], v8, v9 src0_sel:BYTE_0 src1_sel:DWORD
	s_and_saveexec_b64 s[0:1], s[8:9]
	s_cbranch_execz .LBB9_10
; %bb.9:
	global_load_ushort v15, v[4:5], off offset:256
	s_waitcnt vmcnt(0)
	v_cvt_f32_f16_e32 v15, v15
	v_mul_f32_e32 v16, s12, v15
.LBB9_10:
	s_or_b64 exec, exec, s[0:1]
	s_waitcnt vmcnt(1)
	v_cvt_f32_f16_e32 v15, v14
	v_lshrrev_b32_e32 v17, 8, v8
	v_cvt_f32_f16_sdwa v14, v14 dst_sel:DWORD dst_unused:UNUSED_PAD src0_sel:WORD_1
	v_cmp_ne_u16_sdwa s[0:1], v17, v9 src0_sel:BYTE_0 src1_sel:DWORD
	s_waitcnt vmcnt(0)
	v_cvt_f32_f16_e32 v17, v11
	v_mul_f32_e32 v15, s12, v15
	v_cndmask_b32_e64 v20, v12, v15, s[0:1]
	v_and_b32_sdwa v15, v8, s6 dst_sel:DWORD dst_unused:UNUSED_PAD src0_sel:WORD_1 src1_sel:DWORD
	v_mul_f32_e32 v11, s12, v14
	v_cmp_ne_u16_e64 s[0:1], 1, v15
	v_cndmask_b32_e64 v11, v12, v11, s[0:1]
	v_mul_f32_e32 v14, s12, v17
	v_cmp_ne_u16_sdwa s[0:1], v8, v9 src0_sel:BYTE_3 src1_sel:DWORD
	v_cndmask_b32_e64 v8, v12, v14, s[0:1]
.LBB9_11:
	s_or_b64 exec, exec, s[4:5]
	v_add_u32_e32 v9, 0x100, v0
	v_cmp_gt_i32_e64 s[0:1], s14, v9
	v_mov_b32_e32 v17, 0xff800000
	v_mov_b32_e32 v21, 0xff800000
	v_mov_b32_e32 v14, 0xff800000
	v_mov_b32_e32 v9, 0xff800000
	s_and_saveexec_b64 s[4:5], s[0:1]
	s_cbranch_execz .LBB9_15
; %bb.12:
	global_load_dword v9, v[6:7], off offset:256
	global_load_dword v18, v[4:5], off offset:514
	global_load_ushort v14, v[4:5], off offset:518
	v_mov_b32_e32 v12, 1
	s_movk_i32 s6, 0xff
	v_mov_b32_e32 v15, 0xc61c4000
	v_mov_b32_e32 v17, 0xc61c4000
	s_waitcnt vmcnt(2)
	v_cmp_ne_u16_sdwa s[8:9], v9, v12 src0_sel:BYTE_0 src1_sel:DWORD
	s_and_saveexec_b64 s[0:1], s[8:9]
	s_cbranch_execz .LBB9_14
; %bb.13:
	global_load_ushort v17, v[4:5], off offset:512
	s_waitcnt vmcnt(0)
	v_cvt_f32_f16_e32 v17, v17
	v_mul_f32_e32 v17, s12, v17
.LBB9_14:
	s_or_b64 exec, exec, s[0:1]
	s_waitcnt vmcnt(1)
	v_cvt_f32_f16_e32 v21, v18
	v_cvt_f32_f16_sdwa v18, v18 dst_sel:DWORD dst_unused:UNUSED_PAD src0_sel:WORD_1
	s_waitcnt vmcnt(0)
	v_cvt_f32_f16_e32 v23, v14
	v_lshrrev_b32_e32 v22, 8, v9
	v_mul_f32_e32 v21, s12, v21
	v_cmp_ne_u16_sdwa s[0:1], v22, v12 src0_sel:BYTE_0 src1_sel:DWORD
	v_and_b32_sdwa v22, v9, s6 dst_sel:DWORD dst_unused:UNUSED_PAD src0_sel:WORD_1 src1_sel:DWORD
	v_cndmask_b32_e64 v21, v15, v21, s[0:1]
	v_mul_f32_e32 v14, s12, v18
	v_cmp_ne_u16_e64 s[0:1], 1, v22
	v_cndmask_b32_e64 v14, v15, v14, s[0:1]
	v_mul_f32_e32 v18, s12, v23
	v_cmp_ne_u16_sdwa s[0:1], v9, v12 src0_sel:BYTE_3 src1_sel:DWORD
	v_cndmask_b32_e64 v9, v15, v18, s[0:1]
.LBB9_15:
	s_or_b64 exec, exec, s[4:5]
	v_add_u32_e32 v12, 0x180, v0
	v_cmp_gt_i32_e64 s[0:1], s14, v12
	v_mov_b32_e32 v18, 0xff800000
	v_mov_b32_e32 v22, 0xff800000
	;; [unrolled: 1-line block ×4, first 2 shown]
	s_and_saveexec_b64 s[4:5], s[0:1]
	s_cbranch_execz .LBB9_19
; %bb.16:
	global_load_dword v12, v[6:7], off offset:384
	global_load_dword v22, v[4:5], off offset:770
	global_load_ushort v15, v[4:5], off offset:774
	v_mov_b32_e32 v6, 1
	s_movk_i32 s6, 0xff
	v_mov_b32_e32 v7, 0xc61c4000
	v_mov_b32_e32 v18, 0xc61c4000
	s_waitcnt vmcnt(2)
	v_cmp_ne_u16_sdwa s[8:9], v12, v6 src0_sel:BYTE_0 src1_sel:DWORD
	s_and_saveexec_b64 s[0:1], s[8:9]
	s_cbranch_execz .LBB9_18
; %bb.17:
	global_load_ushort v4, v[4:5], off offset:768
	s_waitcnt vmcnt(0)
	v_cvt_f32_f16_e32 v4, v4
	v_mul_f32_e32 v18, s12, v4
.LBB9_18:
	s_or_b64 exec, exec, s[0:1]
	s_waitcnt vmcnt(1)
	v_cvt_f32_f16_e32 v4, v22
	v_lshrrev_b32_e32 v5, 8, v12
	v_cvt_f32_f16_sdwa v23, v22 dst_sel:DWORD dst_unused:UNUSED_PAD src0_sel:WORD_1
	v_cmp_ne_u16_sdwa s[0:1], v5, v6 src0_sel:BYTE_0 src1_sel:DWORD
	s_waitcnt vmcnt(0)
	v_cvt_f32_f16_e32 v5, v15
	v_mul_f32_e32 v4, s12, v4
	v_cndmask_b32_e64 v22, v7, v4, s[0:1]
	v_and_b32_sdwa v4, v12, s6 dst_sel:DWORD dst_unused:UNUSED_PAD src0_sel:WORD_1 src1_sel:DWORD
	v_mul_f32_e32 v15, s12, v23
	v_cmp_ne_u16_e64 s[0:1], 1, v4
	v_cndmask_b32_e64 v15, v7, v15, s[0:1]
	v_mul_f32_e32 v4, s12, v5
	v_cmp_ne_u16_sdwa s[0:1], v12, v6 src0_sel:BYTE_3 src1_sel:DWORD
	v_cndmask_b32_e64 v12, v7, v4, s[0:1]
.LBB9_19:
	s_or_b64 exec, exec, s[4:5]
.LBB9_20:
	s_or_b64 exec, exec, s[2:3]
	v_cmp_gt_f32_e64 s[0:1], v13, v19
	v_cndmask_b32_e64 v4, v19, v13, s[0:1]
	v_cmp_gt_f32_e64 s[0:1], v4, v10
	v_cndmask_b32_e64 v4, v10, v4, s[0:1]
	v_cmp_gt_f32_e64 s[0:1], v4, v1
	v_cndmask_b32_e64 v4, v1, v4, s[0:1]
	v_cmp_gt_f32_e64 s[0:1], v4, v16
	v_cndmask_b32_e64 v4, v16, v4, s[0:1]
	v_cmp_gt_f32_e64 s[0:1], v4, v20
	v_cndmask_b32_e64 v4, v20, v4, s[0:1]
	v_cmp_gt_f32_e64 s[0:1], v4, v11
	v_cndmask_b32_e64 v4, v11, v4, s[0:1]
	v_cmp_gt_f32_e64 s[0:1], v4, v8
	v_cndmask_b32_e64 v4, v8, v4, s[0:1]
	v_cmp_gt_f32_e64 s[0:1], v4, v17
	v_cndmask_b32_e64 v4, v17, v4, s[0:1]
	v_cmp_gt_f32_e64 s[0:1], v4, v21
	v_cndmask_b32_e64 v4, v21, v4, s[0:1]
	v_cmp_gt_f32_e64 s[0:1], v4, v14
	v_cndmask_b32_e64 v4, v14, v4, s[0:1]
	v_cmp_gt_f32_e64 s[0:1], v4, v9
	v_cndmask_b32_e64 v4, v9, v4, s[0:1]
	v_cmp_gt_f32_e64 s[0:1], v4, v18
	v_cndmask_b32_e64 v4, v18, v4, s[0:1]
	v_cmp_gt_f32_e64 s[0:1], v4, v22
	v_cndmask_b32_e64 v4, v22, v4, s[0:1]
	v_cmp_gt_f32_e64 s[0:1], v4, v15
	v_cndmask_b32_e64 v4, v15, v4, s[0:1]
	v_cmp_gt_f32_e64 s[0:1], v4, v12
	v_cndmask_b32_e64 v5, v12, v4, s[0:1]
	v_mbcnt_lo_u32_b32 v4, -1, 0
	v_mbcnt_hi_u32_b32 v6, -1, v4
	v_and_b32_e32 v4, 0x60, v6
	v_add_u32_e32 v7, 32, v4
	v_xor_b32_e32 v4, 16, v6
	v_cmp_lt_i32_e64 s[0:1], v4, v7
	v_cndmask_b32_e64 v4, v6, v4, s[0:1]
	v_lshlrev_b32_e32 v4, 2, v4
	ds_bpermute_b32 v23, v4, v5
	s_mov_b32 s3, 0x3fb8aa3b
	s_mov_b32 s2, 0xc2ce8ed0
	s_mov_b32 s4, 0x42b17218
	v_mov_b32_e32 v32, 0x7f800000
	s_waitcnt lgkmcnt(0)
	v_cmp_lt_f32_e64 s[0:1], v5, v23
	v_cndmask_b32_e64 v5, v5, v23, s[0:1]
	v_xor_b32_e32 v23, 8, v6
	v_cmp_lt_i32_e64 s[0:1], v23, v7
	v_cndmask_b32_e64 v23, v6, v23, s[0:1]
	v_lshlrev_b32_e32 v25, 2, v23
	ds_bpermute_b32 v23, v25, v5
	s_waitcnt lgkmcnt(0)
	v_cmp_lt_f32_e64 s[0:1], v5, v23
	v_cndmask_b32_e64 v5, v5, v23, s[0:1]
	v_xor_b32_e32 v23, 4, v6
	v_cmp_lt_i32_e64 s[0:1], v23, v7
	v_cndmask_b32_e64 v23, v6, v23, s[0:1]
	v_lshlrev_b32_e32 v27, 2, v23
	ds_bpermute_b32 v23, v27, v5
	;; [unrolled: 8-line block ×4, first 2 shown]
	s_waitcnt lgkmcnt(0)
	v_cmp_lt_f32_e64 s[0:1], v5, v6
	v_cndmask_b32_e64 v28, v5, v6, s[0:1]
	v_sub_f32_e32 v5, v13, v28
	v_mul_f32_e32 v6, 0x3fb8aa3b, v5
	v_fma_f32 v7, v5, s3, -v6
	v_rndne_f32_e32 v13, v6
	v_fmac_f32_e32 v7, 0x32a5705f, v5
	v_sub_f32_e32 v6, v6, v13
	v_add_f32_e32 v6, v6, v7
	v_exp_f32_e32 v6, v6
	v_cvt_i32_f32_e32 v7, v13
	v_cmp_ngt_f32_e64 s[0:1], s2, v5
	v_sub_f32_e32 v1, v1, v28
	v_sub_f32_e32 v12, v12, v28
	v_ldexp_f32 v6, v6, v7
	v_sub_f32_e32 v7, v19, v28
	v_mul_f32_e32 v13, 0x3fb8aa3b, v7
	v_fma_f32 v19, v7, s3, -v13
	v_rndne_f32_e32 v23, v13
	v_fmac_f32_e32 v19, 0x32a5705f, v7
	v_sub_f32_e32 v13, v13, v23
	v_add_f32_e32 v13, v13, v19
	v_exp_f32_e32 v13, v13
	v_cvt_i32_f32_e32 v19, v23
	v_cndmask_b32_e64 v6, 0, v6, s[0:1]
	v_cmp_nlt_f32_e64 s[0:1], s4, v5
	v_cndmask_b32_e64 v30, v32, v6, s[0:1]
	v_sub_f32_e32 v6, v10, v28
	v_mul_f32_e32 v10, 0x3fb8aa3b, v6
	v_ldexp_f32 v5, v13, v19
	v_fma_f32 v13, v6, s3, -v10
	v_rndne_f32_e32 v19, v10
	v_fmac_f32_e32 v13, 0x32a5705f, v6
	v_sub_f32_e32 v10, v10, v19
	v_add_f32_e32 v10, v10, v13
	v_exp_f32_e32 v10, v10
	v_cvt_i32_f32_e32 v13, v19
	v_cmp_ngt_f32_e64 s[0:1], s2, v7
	v_cndmask_b32_e64 v5, 0, v5, s[0:1]
	v_cmp_nlt_f32_e64 s[0:1], s4, v7
	v_ldexp_f32 v7, v10, v13
	v_mul_f32_e32 v10, 0x3fb8aa3b, v1
	v_fma_f32 v13, v1, s3, -v10
	v_rndne_f32_e32 v19, v10
	v_fmac_f32_e32 v13, 0x32a5705f, v1
	v_sub_f32_e32 v10, v10, v19
	v_add_f32_e32 v10, v10, v13
	v_exp_f32_e32 v10, v10
	v_cvt_i32_f32_e32 v13, v19
	v_cndmask_b32_e64 v26, v32, v5, s[0:1]
	v_cmp_ngt_f32_e64 s[0:1], s2, v6
	v_cndmask_b32_e64 v7, 0, v7, s[0:1]
	v_cmp_nlt_f32_e64 s[0:1], s4, v6
	v_cndmask_b32_e64 v24, v32, v7, s[0:1]
	v_sub_f32_e32 v7, v16, v28
	v_ldexp_f32 v6, v10, v13
	v_mul_f32_e32 v10, 0x3fb8aa3b, v7
	v_fma_f32 v13, v7, s3, -v10
	v_rndne_f32_e32 v16, v10
	v_fmac_f32_e32 v13, 0x32a5705f, v7
	v_sub_f32_e32 v10, v10, v16
	v_add_f32_e32 v10, v10, v13
	v_exp_f32_e32 v10, v10
	v_cvt_i32_f32_e32 v13, v16
	v_cmp_ngt_f32_e64 s[0:1], s2, v1
	v_add_f32_e32 v5, v30, v26
	v_cndmask_b32_e64 v6, 0, v6, s[0:1]
	v_cmp_nlt_f32_e64 s[0:1], s4, v1
	v_add_f32_e32 v5, v5, v24
	v_cndmask_b32_e64 v23, v32, v6, s[0:1]
	v_sub_f32_e32 v6, v20, v28
	v_add_f32_e32 v1, v5, v23
	v_ldexp_f32 v5, v10, v13
	v_mul_f32_e32 v10, 0x3fb8aa3b, v6
	v_fma_f32 v13, v6, s3, -v10
	v_rndne_f32_e32 v16, v10
	v_fmac_f32_e32 v13, 0x32a5705f, v6
	v_sub_f32_e32 v10, v10, v16
	v_add_f32_e32 v10, v10, v13
	v_exp_f32_e32 v10, v10
	v_cvt_i32_f32_e32 v13, v16
	v_cmp_ngt_f32_e64 s[0:1], s2, v7
	v_cndmask_b32_e64 v5, 0, v5, s[0:1]
	v_cmp_nlt_f32_e64 s[0:1], s4, v7
	v_sub_f32_e32 v7, v11, v28
	v_cndmask_b32_e64 v20, v32, v5, s[0:1]
	v_ldexp_f32 v5, v10, v13
	v_mul_f32_e32 v10, 0x3fb8aa3b, v7
	v_fma_f32 v11, v7, s3, -v10
	v_rndne_f32_e32 v13, v10
	v_fmac_f32_e32 v11, 0x32a5705f, v7
	v_sub_f32_e32 v10, v10, v13
	v_add_f32_e32 v10, v10, v11
	v_exp_f32_e32 v10, v10
	v_cvt_i32_f32_e32 v11, v13
	v_cmp_ngt_f32_e64 s[0:1], s2, v6
	v_cndmask_b32_e64 v5, 0, v5, s[0:1]
	v_cmp_nlt_f32_e64 s[0:1], s4, v6
	v_sub_f32_e32 v6, v8, v28
	v_mul_f32_e32 v8, 0x3fb8aa3b, v6
	v_cndmask_b32_e64 v19, v32, v5, s[0:1]
	v_ldexp_f32 v5, v10, v11
	v_fma_f32 v10, v6, s3, -v8
	v_rndne_f32_e32 v11, v8
	v_fmac_f32_e32 v10, 0x32a5705f, v6
	v_sub_f32_e32 v8, v8, v11
	v_add_f32_e32 v8, v8, v10
	v_exp_f32_e32 v8, v8
	v_cvt_i32_f32_e32 v10, v11
	v_cmp_ngt_f32_e64 s[0:1], s2, v7
	v_cndmask_b32_e64 v5, 0, v5, s[0:1]
	v_cmp_nlt_f32_e64 s[0:1], s4, v7
	v_sub_f32_e32 v7, v17, v28
	v_cndmask_b32_e64 v16, v32, v5, s[0:1]
	v_ldexp_f32 v5, v8, v10
	v_mul_f32_e32 v8, 0x3fb8aa3b, v7
	v_fma_f32 v10, v7, s3, -v8
	v_rndne_f32_e32 v11, v8
	v_fmac_f32_e32 v10, 0x32a5705f, v7
	v_sub_f32_e32 v8, v8, v11
	v_add_f32_e32 v8, v8, v10
	v_exp_f32_e32 v8, v8
	v_cvt_i32_f32_e32 v10, v11
	v_cmp_ngt_f32_e64 s[0:1], s2, v6
	v_cndmask_b32_e64 v5, 0, v5, s[0:1]
	v_cmp_nlt_f32_e64 s[0:1], s4, v6
	v_sub_f32_e32 v6, v21, v28
	v_cndmask_b32_e64 v13, v32, v5, s[0:1]
	v_ldexp_f32 v5, v8, v10
	v_mul_f32_e32 v8, 0x3fb8aa3b, v6
	;; [unrolled: 14-line block ×6, first 2 shown]
	v_fma_f32 v17, v6, s3, -v14
	v_rndne_f32_e32 v18, v14
	v_fmac_f32_e32 v17, 0x32a5705f, v6
	v_sub_f32_e32 v14, v14, v18
	v_add_f32_e32 v14, v14, v17
	v_exp_f32_e32 v14, v14
	v_cvt_i32_f32_e32 v17, v18
	v_cmp_ngt_f32_e64 s[0:1], s2, v7
	v_cndmask_b32_e64 v5, 0, v5, s[0:1]
	v_cmp_nlt_f32_e64 s[0:1], s4, v7
	v_cndmask_b32_e64 v7, v32, v5, s[0:1]
	v_ldexp_f32 v5, v14, v17
	v_sub_f32_e32 v14, v15, v28
	v_mul_f32_e32 v15, 0x3fb8aa3b, v14
	v_fma_f32 v17, v14, s3, -v15
	v_rndne_f32_e32 v18, v15
	v_fmac_f32_e32 v17, 0x32a5705f, v14
	v_sub_f32_e32 v15, v15, v18
	v_add_f32_e32 v15, v15, v17
	v_exp_f32_e32 v15, v15
	v_cvt_i32_f32_e32 v17, v18
	v_add_f32_e32 v1, v1, v20
	v_cmp_ngt_f32_e64 s[0:1], s2, v6
	v_add_f32_e32 v1, v1, v19
	v_cndmask_b32_e64 v5, 0, v5, s[0:1]
	v_cmp_nlt_f32_e64 s[0:1], s4, v6
	v_add_f32_e32 v1, v1, v16
	v_cndmask_b32_e64 v6, v32, v5, s[0:1]
	v_ldexp_f32 v5, v15, v17
	v_mul_f32_e32 v15, 0x3fb8aa3b, v12
	v_add_f32_e32 v1, v1, v13
	v_fma_f32 v17, v12, s3, -v15
	v_rndne_f32_e32 v18, v15
	v_add_f32_e32 v1, v1, v11
	v_fmac_f32_e32 v17, 0x32a5705f, v12
	v_sub_f32_e32 v15, v15, v18
	v_add_f32_e32 v1, v1, v10
	v_add_f32_e32 v15, v15, v17
	;; [unrolled: 1-line block ×3, first 2 shown]
	v_exp_f32_e32 v15, v15
	v_cvt_i32_f32_e32 v17, v18
	v_add_f32_e32 v1, v1, v8
	v_cmp_ngt_f32_e64 s[0:1], s2, v14
	v_add_f32_e32 v1, v1, v7
	v_cndmask_b32_e64 v5, 0, v5, s[0:1]
	v_cmp_nlt_f32_e64 s[0:1], s4, v14
	v_add_f32_e32 v1, v1, v6
	v_cndmask_b32_e64 v5, v32, v5, s[0:1]
	v_add_f32_e32 v14, v1, v5
	v_ldexp_f32 v1, v15, v17
	v_cmp_ngt_f32_e64 s[0:1], s2, v12
	v_cndmask_b32_e64 v1, 0, v1, s[0:1]
	v_cmp_nlt_f32_e64 s[0:1], s4, v12
	v_cndmask_b32_e64 v1, v32, v1, s[0:1]
	v_add_f32_e32 v12, v14, v1
	ds_bpermute_b32 v4, v4, v12
	v_cmp_gt_i32_e64 s[0:1], s14, v0
	s_and_b64 s[0:1], vcc, s[0:1]
	s_waitcnt lgkmcnt(0)
	v_add_f32_e32 v4, v12, v4
	ds_bpermute_b32 v12, v25, v4
	s_waitcnt lgkmcnt(0)
	v_add_f32_e32 v4, v4, v12
	ds_bpermute_b32 v12, v27, v4
	;; [unrolled: 3-line block ×4, first 2 shown]
	s_and_saveexec_b64 s[2:3], s[0:1]
	s_cbranch_execz .LBB9_57
; %bb.21:
	s_mov_b32 s0, 0xc61c4000
	v_cmp_neq_f32_e64 s[0:1], s0, v28
	s_waitcnt lgkmcnt(0)
	v_add_f32_e32 v4, v4, v12
	v_mov_b32_e32 v12, 0
	v_mov_b32_e32 v14, 0
	s_and_saveexec_b64 s[2:3], s[0:1]
	s_cbranch_execz .LBB9_23
; %bb.22:
	v_div_scale_f32 v14, s[4:5], v4, v4, v30
	v_rcp_f32_e32 v15, v14
	v_div_scale_f32 v17, vcc, v30, v4, v30
	v_fma_f32 v18, -v14, v15, 1.0
	v_fmac_f32_e32 v15, v18, v15
	v_mul_f32_e32 v18, v17, v15
	v_fma_f32 v21, -v14, v18, v17
	v_fmac_f32_e32 v18, v21, v15
	v_fma_f32 v14, -v14, v18, v17
	v_div_fmas_f32 v14, v14, v15, v18
	v_div_fixup_f32 v14, v14, v4, v30
	v_cvt_f16_f32_e32 v14, v14
.LBB9_23:
	s_or_b64 exec, exec, s[2:3]
	s_and_saveexec_b64 s[2:3], s[0:1]
	s_cbranch_execz .LBB9_25
; %bb.24:
	v_div_scale_f32 v12, s[4:5], v4, v4, v26
	v_rcp_f32_e32 v15, v12
	v_div_scale_f32 v17, vcc, v26, v4, v26
	v_fma_f32 v18, -v12, v15, 1.0
	v_fmac_f32_e32 v15, v18, v15
	v_mul_f32_e32 v18, v17, v15
	v_fma_f32 v21, -v12, v18, v17
	v_fmac_f32_e32 v18, v21, v15
	v_fma_f32 v12, -v12, v18, v17
	v_div_fmas_f32 v12, v12, v15, v18
	v_div_fixup_f32 v12, v12, v4, v26
	v_cvt_f16_f32_e32 v12, v12
.LBB9_25:
	s_or_b64 exec, exec, s[2:3]
	v_mov_b32_e32 v15, 0
	v_mov_b32_e32 v17, 0
	s_and_saveexec_b64 s[2:3], s[0:1]
	s_cbranch_execz .LBB9_27
; %bb.26:
	v_div_scale_f32 v17, s[4:5], v4, v4, v24
	v_rcp_f32_e32 v18, v17
	v_div_scale_f32 v21, vcc, v24, v4, v24
	v_fma_f32 v22, -v17, v18, 1.0
	v_fmac_f32_e32 v18, v22, v18
	v_mul_f32_e32 v22, v21, v18
	v_fma_f32 v25, -v17, v22, v21
	v_fmac_f32_e32 v22, v25, v18
	v_fma_f32 v17, -v17, v22, v21
	v_div_fmas_f32 v17, v17, v18, v22
	v_div_fixup_f32 v17, v17, v4, v24
	v_cvt_f16_f32_e32 v17, v17
.LBB9_27:
	s_or_b64 exec, exec, s[2:3]
	s_and_saveexec_b64 s[2:3], s[0:1]
	s_cbranch_execz .LBB9_29
; %bb.28:
	v_div_scale_f32 v15, s[4:5], v4, v4, v23
	v_rcp_f32_e32 v18, v15
	v_div_scale_f32 v21, vcc, v23, v4, v23
	v_fma_f32 v22, -v15, v18, 1.0
	v_fmac_f32_e32 v18, v22, v18
	v_mul_f32_e32 v22, v21, v18
	v_fma_f32 v24, -v15, v22, v21
	v_fmac_f32_e32 v22, v24, v18
	v_fma_f32 v15, -v15, v22, v21
	v_div_fmas_f32 v15, v15, v18, v22
	v_div_fixup_f32 v15, v15, v4, v23
	v_cvt_f16_f32_e32 v15, v15
.LBB9_29:
	s_or_b64 exec, exec, s[2:3]
	v_mov_b32_e32 v18, s17
	v_add_co_u32_e32 v2, vcc, s16, v2
	s_mov_b32 s2, 0x5040100
	v_addc_co_u32_e32 v3, vcc, v18, v3, vcc
	v_perm_b32 v14, v12, v14, s2
	v_add_u32_e32 v12, 0x80, v0
	v_perm_b32 v15, v15, v17, s2
	v_cmp_gt_u32_e32 vcc, s14, v12
	global_store_dwordx2 v[2:3], v[14:15], off
	s_and_b64 exec, exec, vcc
	s_cbranch_execz .LBB9_57
; %bb.30:
	v_mov_b32_e32 v12, 0
	v_mov_b32_e32 v14, 0
	s_and_saveexec_b64 s[2:3], s[0:1]
	s_cbranch_execz .LBB9_32
; %bb.31:
	v_div_scale_f32 v14, s[4:5], v4, v4, v20
	v_rcp_f32_e32 v15, v14
	v_div_scale_f32 v17, vcc, v20, v4, v20
	v_fma_f32 v18, -v14, v15, 1.0
	v_fmac_f32_e32 v15, v18, v15
	v_mul_f32_e32 v18, v17, v15
	v_fma_f32 v21, -v14, v18, v17
	v_fmac_f32_e32 v18, v21, v15
	v_fma_f32 v14, -v14, v18, v17
	v_div_fmas_f32 v14, v14, v15, v18
	v_div_fixup_f32 v14, v14, v4, v20
	v_cvt_f16_f32_e32 v14, v14
.LBB9_32:
	s_or_b64 exec, exec, s[2:3]
	s_and_saveexec_b64 s[2:3], s[0:1]
	s_cbranch_execz .LBB9_34
; %bb.33:
	v_div_scale_f32 v12, s[4:5], v4, v4, v19
	v_rcp_f32_e32 v15, v12
	v_div_scale_f32 v17, vcc, v19, v4, v19
	v_fma_f32 v18, -v12, v15, 1.0
	v_fmac_f32_e32 v15, v18, v15
	v_mul_f32_e32 v18, v17, v15
	v_fma_f32 v20, -v12, v18, v17
	v_fmac_f32_e32 v18, v20, v15
	v_fma_f32 v12, -v12, v18, v17
	v_div_fmas_f32 v12, v12, v15, v18
	v_div_fixup_f32 v12, v12, v4, v19
	v_cvt_f16_f32_e32 v12, v12
.LBB9_34:
	s_or_b64 exec, exec, s[2:3]
	v_mov_b32_e32 v15, 0
	v_mov_b32_e32 v17, 0
	s_and_saveexec_b64 s[2:3], s[0:1]
	s_cbranch_execz .LBB9_36
; %bb.35:
	v_div_scale_f32 v17, s[4:5], v4, v4, v16
	v_rcp_f32_e32 v18, v17
	v_div_scale_f32 v19, vcc, v16, v4, v16
	v_fma_f32 v20, -v17, v18, 1.0
	v_fmac_f32_e32 v18, v20, v18
	v_mul_f32_e32 v20, v19, v18
	v_fma_f32 v21, -v17, v20, v19
	v_fmac_f32_e32 v20, v21, v18
	v_fma_f32 v17, -v17, v20, v19
	v_div_fmas_f32 v17, v17, v18, v20
	v_div_fixup_f32 v16, v17, v4, v16
	v_cvt_f16_f32_e32 v17, v16
.LBB9_36:
	s_or_b64 exec, exec, s[2:3]
	s_and_saveexec_b64 s[2:3], s[0:1]
	s_cbranch_execz .LBB9_38
; %bb.37:
	v_div_scale_f32 v15, s[4:5], v4, v4, v13
	v_rcp_f32_e32 v16, v15
	v_div_scale_f32 v18, vcc, v13, v4, v13
	v_fma_f32 v19, -v15, v16, 1.0
	v_fmac_f32_e32 v16, v19, v16
	v_mul_f32_e32 v19, v18, v16
	v_fma_f32 v20, -v15, v19, v18
	v_fmac_f32_e32 v19, v20, v16
	v_fma_f32 v15, -v15, v19, v18
	v_div_fmas_f32 v15, v15, v16, v19
	v_div_fixup_f32 v13, v15, v4, v13
	v_cvt_f16_f32_e32 v15, v13
.LBB9_38:
	s_or_b64 exec, exec, s[2:3]
	s_mov_b32 s2, 0x5040100
	v_perm_b32 v13, v15, v17, s2
	v_perm_b32 v12, v12, v14, s2
	global_store_dwordx2 v[2:3], v[12:13], off offset:256
	v_add_u32_e32 v12, 0x100, v0
	v_cmp_gt_u32_e32 vcc, s14, v12
	s_and_b64 exec, exec, vcc
	s_cbranch_execz .LBB9_57
; %bb.39:
	v_mov_b32_e32 v12, 0
	v_mov_b32_e32 v13, 0
	s_and_saveexec_b64 s[2:3], s[0:1]
	s_cbranch_execz .LBB9_41
; %bb.40:
	v_div_scale_f32 v13, s[4:5], v4, v4, v11
	v_rcp_f32_e32 v14, v13
	v_div_scale_f32 v15, vcc, v11, v4, v11
	v_fma_f32 v16, -v13, v14, 1.0
	v_fmac_f32_e32 v14, v16, v14
	v_mul_f32_e32 v16, v15, v14
	v_fma_f32 v17, -v13, v16, v15
	v_fmac_f32_e32 v16, v17, v14
	v_fma_f32 v13, -v13, v16, v15
	v_div_fmas_f32 v13, v13, v14, v16
	v_div_fixup_f32 v11, v13, v4, v11
	v_cvt_f16_f32_e32 v13, v11
.LBB9_41:
	s_or_b64 exec, exec, s[2:3]
	s_and_saveexec_b64 s[2:3], s[0:1]
	s_cbranch_execz .LBB9_43
; %bb.42:
	v_div_scale_f32 v11, s[4:5], v4, v4, v10
	v_rcp_f32_e32 v12, v11
	v_div_scale_f32 v14, vcc, v10, v4, v10
	v_fma_f32 v15, -v11, v12, 1.0
	v_fmac_f32_e32 v12, v15, v12
	v_mul_f32_e32 v15, v14, v12
	v_fma_f32 v16, -v11, v15, v14
	v_fmac_f32_e32 v15, v16, v12
	v_fma_f32 v11, -v11, v15, v14
	v_div_fmas_f32 v11, v11, v12, v15
	v_div_fixup_f32 v10, v11, v4, v10
	v_cvt_f16_f32_e32 v12, v10
.LBB9_43:
	s_or_b64 exec, exec, s[2:3]
	v_mov_b32_e32 v10, 0
	v_mov_b32_e32 v11, 0
	s_and_saveexec_b64 s[2:3], s[0:1]
	s_cbranch_execz .LBB9_45
; %bb.44:
	v_div_scale_f32 v11, s[4:5], v4, v4, v9
	v_rcp_f32_e32 v14, v11
	v_div_scale_f32 v15, vcc, v9, v4, v9
	v_fma_f32 v16, -v11, v14, 1.0
	v_fmac_f32_e32 v14, v16, v14
	v_mul_f32_e32 v16, v15, v14
	v_fma_f32 v17, -v11, v16, v15
	v_fmac_f32_e32 v16, v17, v14
	v_fma_f32 v11, -v11, v16, v15
	v_div_fmas_f32 v11, v11, v14, v16
	v_div_fixup_f32 v9, v11, v4, v9
	v_cvt_f16_f32_e32 v11, v9
.LBB9_45:
	s_or_b64 exec, exec, s[2:3]
	s_and_saveexec_b64 s[2:3], s[0:1]
	s_cbranch_execz .LBB9_47
; %bb.46:
	v_div_scale_f32 v9, s[4:5], v4, v4, v8
	v_rcp_f32_e32 v10, v9
	v_div_scale_f32 v14, vcc, v8, v4, v8
	v_fma_f32 v15, -v9, v10, 1.0
	v_fmac_f32_e32 v10, v15, v10
	v_mul_f32_e32 v15, v14, v10
	v_fma_f32 v16, -v9, v15, v14
	v_fmac_f32_e32 v15, v16, v10
	v_fma_f32 v9, -v9, v15, v14
	v_div_fmas_f32 v9, v9, v10, v15
	v_div_fixup_f32 v8, v9, v4, v8
	v_cvt_f16_f32_e32 v10, v8
.LBB9_47:
	s_or_b64 exec, exec, s[2:3]
	s_mov_b32 s2, 0x5040100
	v_add_u32_e32 v0, 0x180, v0
	v_perm_b32 v9, v10, v11, s2
	v_perm_b32 v8, v12, v13, s2
	v_cmp_gt_u32_e32 vcc, s14, v0
	global_store_dwordx2 v[2:3], v[8:9], off offset:512
	s_and_b64 exec, exec, vcc
	s_cbranch_execz .LBB9_57
; %bb.48:
	v_mov_b32_e32 v0, 0
	v_mov_b32_e32 v8, 0
	s_and_saveexec_b64 s[2:3], s[0:1]
	s_cbranch_execz .LBB9_50
; %bb.49:
	v_div_scale_f32 v8, s[4:5], v4, v4, v7
	v_rcp_f32_e32 v9, v8
	v_div_scale_f32 v10, vcc, v7, v4, v7
	v_fma_f32 v11, -v8, v9, 1.0
	v_fmac_f32_e32 v9, v11, v9
	v_mul_f32_e32 v11, v10, v9
	v_fma_f32 v12, -v8, v11, v10
	v_fmac_f32_e32 v11, v12, v9
	v_fma_f32 v8, -v8, v11, v10
	v_div_fmas_f32 v8, v8, v9, v11
	v_div_fixup_f32 v7, v8, v4, v7
	v_cvt_f16_f32_e32 v8, v7
.LBB9_50:
	s_or_b64 exec, exec, s[2:3]
	s_and_saveexec_b64 s[2:3], s[0:1]
	s_cbranch_execz .LBB9_52
; %bb.51:
	v_div_scale_f32 v0, s[4:5], v4, v4, v6
	v_rcp_f32_e32 v7, v0
	v_div_scale_f32 v9, vcc, v6, v4, v6
	v_fma_f32 v10, -v0, v7, 1.0
	v_fmac_f32_e32 v7, v10, v7
	v_mul_f32_e32 v10, v9, v7
	v_fma_f32 v11, -v0, v10, v9
	v_fmac_f32_e32 v10, v11, v7
	v_fma_f32 v0, -v0, v10, v9
	v_div_fmas_f32 v0, v0, v7, v10
	v_div_fixup_f32 v0, v0, v4, v6
	v_cvt_f16_f32_e32 v0, v0
.LBB9_52:
	s_or_b64 exec, exec, s[2:3]
	v_mov_b32_e32 v6, 0
	v_mov_b32_e32 v7, 0
	s_and_saveexec_b64 s[2:3], s[0:1]
	s_cbranch_execz .LBB9_54
; %bb.53:
	v_div_scale_f32 v7, s[4:5], v4, v4, v5
	v_rcp_f32_e32 v9, v7
	v_div_scale_f32 v10, vcc, v5, v4, v5
	v_fma_f32 v11, -v7, v9, 1.0
	v_fmac_f32_e32 v9, v11, v9
	v_mul_f32_e32 v11, v10, v9
	v_fma_f32 v12, -v7, v11, v10
	v_fmac_f32_e32 v11, v12, v9
	v_fma_f32 v7, -v7, v11, v10
	v_div_fmas_f32 v7, v7, v9, v11
	v_div_fixup_f32 v5, v7, v4, v5
	v_cvt_f16_f32_e32 v7, v5
.LBB9_54:
	s_or_b64 exec, exec, s[2:3]
	s_and_saveexec_b64 s[2:3], s[0:1]
	s_cbranch_execz .LBB9_56
; %bb.55:
	v_div_scale_f32 v5, s[0:1], v4, v4, v1
	v_rcp_f32_e32 v6, v5
	v_div_scale_f32 v9, vcc, v1, v4, v1
	v_fma_f32 v10, -v5, v6, 1.0
	v_fmac_f32_e32 v6, v10, v6
	v_mul_f32_e32 v10, v9, v6
	v_fma_f32 v11, -v5, v10, v9
	v_fmac_f32_e32 v10, v11, v6
	v_fma_f32 v5, -v5, v10, v9
	v_div_fmas_f32 v5, v5, v6, v10
	v_div_fixup_f32 v1, v5, v4, v1
	v_cvt_f16_f32_e32 v6, v1
.LBB9_56:
	s_or_b64 exec, exec, s[2:3]
	s_mov_b32 s0, 0x5040100
	v_perm_b32 v1, v6, v7, s0
	v_perm_b32 v0, v0, v8, s0
	global_store_dwordx2 v[2:3], v[0:1], off offset:768
.LBB9_57:
	s_endpgm
	.section	.rodata,"a",@progbits
	.p2align	6, 0x0
	.amdhsa_kernel _Z34scaled_masked_softmax_warp_forwardI6__halfS0_fLi9EEvPT0_PKT_PKhT1_iii
		.amdhsa_group_segment_fixed_size 0
		.amdhsa_private_segment_fixed_size 0
		.amdhsa_kernarg_size 296
		.amdhsa_user_sgpr_count 6
		.amdhsa_user_sgpr_private_segment_buffer 1
		.amdhsa_user_sgpr_dispatch_ptr 0
		.amdhsa_user_sgpr_queue_ptr 0
		.amdhsa_user_sgpr_kernarg_segment_ptr 1
		.amdhsa_user_sgpr_dispatch_id 0
		.amdhsa_user_sgpr_flat_scratch_init 0
		.amdhsa_user_sgpr_kernarg_preload_length 0
		.amdhsa_user_sgpr_kernarg_preload_offset 0
		.amdhsa_user_sgpr_private_segment_size 0
		.amdhsa_uses_dynamic_stack 0
		.amdhsa_system_sgpr_private_segment_wavefront_offset 0
		.amdhsa_system_sgpr_workgroup_id_x 1
		.amdhsa_system_sgpr_workgroup_id_y 1
		.amdhsa_system_sgpr_workgroup_id_z 1
		.amdhsa_system_sgpr_workgroup_info 0
		.amdhsa_system_vgpr_workitem_id 1
		.amdhsa_next_free_vgpr 33
		.amdhsa_next_free_sgpr 20
		.amdhsa_accum_offset 36
		.amdhsa_reserve_vcc 1
		.amdhsa_reserve_flat_scratch 0
		.amdhsa_float_round_mode_32 0
		.amdhsa_float_round_mode_16_64 0
		.amdhsa_float_denorm_mode_32 3
		.amdhsa_float_denorm_mode_16_64 3
		.amdhsa_dx10_clamp 1
		.amdhsa_ieee_mode 1
		.amdhsa_fp16_overflow 0
		.amdhsa_tg_split 0
		.amdhsa_exception_fp_ieee_invalid_op 0
		.amdhsa_exception_fp_denorm_src 0
		.amdhsa_exception_fp_ieee_div_zero 0
		.amdhsa_exception_fp_ieee_overflow 0
		.amdhsa_exception_fp_ieee_underflow 0
		.amdhsa_exception_fp_ieee_inexact 0
		.amdhsa_exception_int_div_zero 0
	.end_amdhsa_kernel
	.section	.text._Z34scaled_masked_softmax_warp_forwardI6__halfS0_fLi9EEvPT0_PKT_PKhT1_iii,"axG",@progbits,_Z34scaled_masked_softmax_warp_forwardI6__halfS0_fLi9EEvPT0_PKT_PKhT1_iii,comdat
.Lfunc_end9:
	.size	_Z34scaled_masked_softmax_warp_forwardI6__halfS0_fLi9EEvPT0_PKT_PKhT1_iii, .Lfunc_end9-_Z34scaled_masked_softmax_warp_forwardI6__halfS0_fLi9EEvPT0_PKT_PKhT1_iii
                                        ; -- End function
	.section	.AMDGPU.csdata,"",@progbits
; Kernel info:
; codeLenInByte = 5024
; NumSgprs: 24
; NumVgprs: 33
; NumAgprs: 0
; TotalNumVgprs: 33
; ScratchSize: 0
; MemoryBound: 0
; FloatMode: 240
; IeeeMode: 1
; LDSByteSize: 0 bytes/workgroup (compile time only)
; SGPRBlocks: 2
; VGPRBlocks: 4
; NumSGPRsForWavesPerEU: 24
; NumVGPRsForWavesPerEU: 33
; AccumOffset: 36
; Occupancy: 8
; WaveLimiterHint : 0
; COMPUTE_PGM_RSRC2:SCRATCH_EN: 0
; COMPUTE_PGM_RSRC2:USER_SGPR: 6
; COMPUTE_PGM_RSRC2:TRAP_HANDLER: 0
; COMPUTE_PGM_RSRC2:TGID_X_EN: 1
; COMPUTE_PGM_RSRC2:TGID_Y_EN: 1
; COMPUTE_PGM_RSRC2:TGID_Z_EN: 1
; COMPUTE_PGM_RSRC2:TIDIG_COMP_CNT: 1
; COMPUTE_PGM_RSRC3_GFX90A:ACCUM_OFFSET: 8
; COMPUTE_PGM_RSRC3_GFX90A:TG_SPLIT: 0
	.section	.text._Z34scaled_masked_softmax_warp_forwardI6__halfS0_fLi10EEvPT0_PKT_PKhT1_iii,"axG",@progbits,_Z34scaled_masked_softmax_warp_forwardI6__halfS0_fLi10EEvPT0_PKT_PKhT1_iii,comdat
	.protected	_Z34scaled_masked_softmax_warp_forwardI6__halfS0_fLi10EEvPT0_PKT_PKhT1_iii ; -- Begin function _Z34scaled_masked_softmax_warp_forwardI6__halfS0_fLi10EEvPT0_PKT_PKhT1_iii
	.globl	_Z34scaled_masked_softmax_warp_forwardI6__halfS0_fLi10EEvPT0_PKT_PKhT1_iii
	.p2align	8
	.type	_Z34scaled_masked_softmax_warp_forwardI6__halfS0_fLi10EEvPT0_PKT_PKhT1_iii,@function
_Z34scaled_masked_softmax_warp_forwardI6__halfS0_fLi10EEvPT0_PKT_PKhT1_iii: ; @_Z34scaled_masked_softmax_warp_forwardI6__halfS0_fLi10EEvPT0_PKT_PKhT1_iii
; %bb.0:
	s_load_dword s2, s[4:5], 0x34
	s_load_dwordx4 s[12:15], s[4:5], 0x18
	s_load_dwordx2 s[0:1], s[4:5], 0x28
	s_mov_b32 s9, s6
	s_waitcnt lgkmcnt(0)
	s_lshr_b32 s2, s2, 16
	s_cmp_eq_u32 s15, 1
	s_cbranch_scc1 .LBB10_2
; %bb.1:
	s_mul_i32 s3, s0, s8
	s_add_i32 s9, s3, s6
.LBB10_2:
	s_mul_i32 s1, s1, s8
	s_add_i32 s1, s1, s7
	s_mul_i32 s0, s0, s1
	s_load_dwordx4 s[16:19], s[4:5], 0x0
	s_load_dwordx2 s[10:11], s[4:5], 0x10
	s_and_b32 s4, 0xffff, s2
	s_add_i32 s0, s0, s6
	s_mul_i32 s0, s0, s4
	v_bfe_u32 v4, v0, 10, 10
	v_and_b32_e32 v0, 0x3ff, v0
	v_add_u32_e32 v1, s0, v4
	v_lshlrev_b32_e32 v0, 2, v0
	v_mad_u64_u32 v[2:3], s[0:1], v1, s14, v[0:1]
	v_ashrrev_i32_e32 v3, 31, v2
	v_cmp_gt_i32_e32 vcc, s13, v1
	v_lshlrev_b64 v[2:3], 1, v[2:3]
                                        ; implicit-def: $vgpr17
                                        ; implicit-def: $vgpr22
                                        ; implicit-def: $vgpr13
                                        ; implicit-def: $vgpr1
                                        ; implicit-def: $vgpr19
                                        ; implicit-def: $vgpr23
                                        ; implicit-def: $vgpr14
                                        ; implicit-def: $vgpr8
                                        ; implicit-def: $vgpr20
                                        ; implicit-def: $vgpr32
                                        ; implicit-def: $vgpr15
                                        ; implicit-def: $vgpr9
                                        ; implicit-def: $vgpr21
                                        ; implicit-def: $vgpr34
                                        ; implicit-def: $vgpr16
                                        ; implicit-def: $vgpr10
                                        ; implicit-def: $vgpr28
                                        ; implicit-def: $vgpr35
                                        ; implicit-def: $vgpr18
                                        ; implicit-def: $vgpr11
                                        ; implicit-def: $vgpr30
                                        ; implicit-def: $vgpr36
                                        ; implicit-def: $vgpr26
                                        ; implicit-def: $vgpr12
                                        ; implicit-def: $vgpr31
                                        ; implicit-def: $vgpr37
                                        ; implicit-def: $vgpr27
                                        ; implicit-def: $vgpr24
                                        ; implicit-def: $vgpr33
                                        ; implicit-def: $vgpr38
                                        ; implicit-def: $vgpr29
                                        ; implicit-def: $vgpr25
	s_and_saveexec_b64 s[2:3], vcc
	s_cbranch_execz .LBB10_36
; %bb.3:
	s_mul_i32 s0, s9, s4
	v_add_u32_e32 v1, s0, v4
	s_waitcnt lgkmcnt(0)
	v_mov_b32_e32 v5, s19
	v_add_co_u32_e64 v4, s[0:1], s18, v2
	v_addc_co_u32_e64 v5, s[0:1], v5, v3, s[0:1]
	v_mad_u64_u32 v[6:7], s[0:1], v1, s14, v[0:1]
	v_ashrrev_i32_e32 v1, 31, v6
	v_mov_b32_e32 v7, s11
	v_add_co_u32_e64 v6, s[0:1], s10, v6
	v_addc_co_u32_e64 v7, s[0:1], v7, v1, s[0:1]
	v_cmp_gt_i32_e64 s[0:1], s14, v0
	v_mov_b32_e32 v17, 0xff800000
	v_mov_b32_e32 v22, 0xff800000
	;; [unrolled: 1-line block ×4, first 2 shown]
	s_and_saveexec_b64 s[4:5], s[0:1]
	s_cbranch_execz .LBB10_7
; %bb.4:
	global_load_dword v1, v[6:7], off
	global_load_dword v11, v[4:5], off offset:2
	global_load_ushort v10, v[4:5], off offset:6
	v_mov_b32_e32 v8, 1
	s_movk_i32 s6, 0xff
	v_mov_b32_e32 v9, 0xc61c4000
	v_mov_b32_e32 v17, 0xc61c4000
	s_waitcnt vmcnt(2)
	v_cmp_ne_u16_sdwa s[8:9], v1, v8 src0_sel:BYTE_0 src1_sel:DWORD
	s_and_saveexec_b64 s[0:1], s[8:9]
	s_cbranch_execz .LBB10_6
; %bb.5:
	global_load_ushort v12, v[4:5], off
	s_waitcnt vmcnt(0)
	v_cvt_f32_f16_e32 v12, v12
	v_mul_f32_e32 v17, s12, v12
.LBB10_6:
	s_or_b64 exec, exec, s[0:1]
	s_waitcnt vmcnt(1)
	v_cvt_f32_f16_e32 v12, v11
	v_cvt_f32_f16_sdwa v11, v11 dst_sel:DWORD dst_unused:UNUSED_PAD src0_sel:WORD_1
	v_lshrrev_b32_e32 v13, 8, v1
	s_waitcnt vmcnt(0)
	v_cvt_f32_f16_e32 v10, v10
	v_mul_f32_e32 v12, s12, v12
	v_cmp_ne_u16_sdwa s[0:1], v13, v8 src0_sel:BYTE_0 src1_sel:DWORD
	v_cndmask_b32_e64 v22, v9, v12, s[0:1]
	v_and_b32_sdwa v12, v1, s6 dst_sel:DWORD dst_unused:UNUSED_PAD src0_sel:WORD_1 src1_sel:DWORD
	v_mul_f32_e32 v11, s12, v11
	v_cmp_ne_u16_e64 s[0:1], 1, v12
	v_cndmask_b32_e64 v13, v9, v11, s[0:1]
	v_mul_f32_e32 v10, s12, v10
	v_cmp_ne_u16_sdwa s[0:1], v1, v8 src0_sel:BYTE_3 src1_sel:DWORD
	v_cndmask_b32_e64 v1, v9, v10, s[0:1]
.LBB10_7:
	s_or_b64 exec, exec, s[4:5]
	v_add_u32_e32 v8, 0x80, v0
	v_cmp_gt_i32_e64 s[0:1], s14, v8
	v_mov_b32_e32 v19, 0xff800000
	v_mov_b32_e32 v23, 0xff800000
	;; [unrolled: 1-line block ×4, first 2 shown]
	s_and_saveexec_b64 s[4:5], s[0:1]
	s_cbranch_execz .LBB10_11
; %bb.8:
	global_load_dword v8, v[6:7], off offset:128
	global_load_dword v12, v[4:5], off offset:258
	global_load_ushort v11, v[4:5], off offset:262
	v_mov_b32_e32 v9, 1
	s_movk_i32 s6, 0xff
	v_mov_b32_e32 v10, 0xc61c4000
	v_mov_b32_e32 v19, 0xc61c4000
	s_waitcnt vmcnt(2)
	v_cmp_ne_u16_sdwa s[8:9], v8, v9 src0_sel:BYTE_0 src1_sel:DWORD
	s_and_saveexec_b64 s[0:1], s[8:9]
	s_cbranch_execz .LBB10_10
; %bb.9:
	global_load_ushort v14, v[4:5], off offset:256
	s_waitcnt vmcnt(0)
	v_cvt_f32_f16_e32 v14, v14
	v_mul_f32_e32 v19, s12, v14
.LBB10_10:
	s_or_b64 exec, exec, s[0:1]
	s_waitcnt vmcnt(1)
	v_cvt_f32_f16_e32 v14, v12
	v_cvt_f32_f16_sdwa v12, v12 dst_sel:DWORD dst_unused:UNUSED_PAD src0_sel:WORD_1
	v_lshrrev_b32_e32 v15, 8, v8
	s_waitcnt vmcnt(0)
	v_cvt_f32_f16_e32 v11, v11
	v_mul_f32_e32 v14, s12, v14
	v_cmp_ne_u16_sdwa s[0:1], v15, v9 src0_sel:BYTE_0 src1_sel:DWORD
	v_cndmask_b32_e64 v23, v10, v14, s[0:1]
	v_and_b32_sdwa v14, v8, s6 dst_sel:DWORD dst_unused:UNUSED_PAD src0_sel:WORD_1 src1_sel:DWORD
	v_mul_f32_e32 v12, s12, v12
	v_cmp_ne_u16_e64 s[0:1], 1, v14
	v_cndmask_b32_e64 v14, v10, v12, s[0:1]
	v_mul_f32_e32 v11, s12, v11
	v_cmp_ne_u16_sdwa s[0:1], v8, v9 src0_sel:BYTE_3 src1_sel:DWORD
	v_cndmask_b32_e64 v8, v10, v11, s[0:1]
.LBB10_11:
	s_or_b64 exec, exec, s[4:5]
	v_add_u32_e32 v9, 0x100, v0
	v_cmp_gt_i32_e64 s[0:1], s14, v9
	v_mov_b32_e32 v20, 0xff800000
	v_mov_b32_e32 v32, 0xff800000
	;; [unrolled: 1-line block ×4, first 2 shown]
	s_and_saveexec_b64 s[4:5], s[0:1]
	s_cbranch_execz .LBB10_15
; %bb.12:
	global_load_dword v9, v[6:7], off offset:256
	global_load_dword v15, v[4:5], off offset:514
	global_load_ushort v12, v[4:5], off offset:518
	v_mov_b32_e32 v10, 1
	s_movk_i32 s6, 0xff
	v_mov_b32_e32 v11, 0xc61c4000
	v_mov_b32_e32 v20, 0xc61c4000
	s_waitcnt vmcnt(2)
	v_cmp_ne_u16_sdwa s[8:9], v9, v10 src0_sel:BYTE_0 src1_sel:DWORD
	s_and_saveexec_b64 s[0:1], s[8:9]
	s_cbranch_execz .LBB10_14
; %bb.13:
	global_load_ushort v16, v[4:5], off offset:512
	s_waitcnt vmcnt(0)
	v_cvt_f32_f16_e32 v16, v16
	v_mul_f32_e32 v20, s12, v16
.LBB10_14:
	s_or_b64 exec, exec, s[0:1]
	s_waitcnt vmcnt(1)
	v_cvt_f32_f16_e32 v16, v15
	v_cvt_f32_f16_sdwa v15, v15 dst_sel:DWORD dst_unused:UNUSED_PAD src0_sel:WORD_1
	v_lshrrev_b32_e32 v18, 8, v9
	s_waitcnt vmcnt(0)
	v_cvt_f32_f16_e32 v12, v12
	v_mul_f32_e32 v16, s12, v16
	v_cmp_ne_u16_sdwa s[0:1], v18, v10 src0_sel:BYTE_0 src1_sel:DWORD
	v_cndmask_b32_e64 v32, v11, v16, s[0:1]
	v_and_b32_sdwa v16, v9, s6 dst_sel:DWORD dst_unused:UNUSED_PAD src0_sel:WORD_1 src1_sel:DWORD
	v_mul_f32_e32 v15, s12, v15
	v_cmp_ne_u16_e64 s[0:1], 1, v16
	v_cndmask_b32_e64 v15, v11, v15, s[0:1]
	v_mul_f32_e32 v12, s12, v12
	v_cmp_ne_u16_sdwa s[0:1], v9, v10 src0_sel:BYTE_3 src1_sel:DWORD
	v_cndmask_b32_e64 v9, v11, v12, s[0:1]
.LBB10_15:
	s_or_b64 exec, exec, s[4:5]
	v_add_u32_e32 v10, 0x180, v0
	v_cmp_gt_i32_e64 s[0:1], s14, v10
	v_mov_b32_e32 v21, 0xff800000
	v_mov_b32_e32 v34, 0xff800000
	v_mov_b32_e32 v16, 0xff800000
	v_mov_b32_e32 v10, 0xff800000
	s_and_saveexec_b64 s[4:5], s[0:1]
	s_cbranch_execz .LBB10_19
; %bb.16:
	global_load_dword v10, v[6:7], off offset:384
	global_load_dword v18, v[4:5], off offset:770
	global_load_ushort v16, v[4:5], off offset:774
	v_mov_b32_e32 v11, 1
	s_movk_i32 s6, 0xff
	v_mov_b32_e32 v12, 0xc61c4000
	v_mov_b32_e32 v21, 0xc61c4000
	s_waitcnt vmcnt(2)
	v_cmp_ne_u16_sdwa s[8:9], v10, v11 src0_sel:BYTE_0 src1_sel:DWORD
	s_and_saveexec_b64 s[0:1], s[8:9]
	s_cbranch_execz .LBB10_18
; %bb.17:
	global_load_ushort v21, v[4:5], off offset:768
	s_waitcnt vmcnt(0)
	v_cvt_f32_f16_e32 v21, v21
	v_mul_f32_e32 v21, s12, v21
.LBB10_18:
	s_or_b64 exec, exec, s[0:1]
	s_waitcnt vmcnt(1)
	v_cvt_f32_f16_e32 v24, v18
	v_lshrrev_b32_e32 v25, 8, v10
	v_cvt_f32_f16_sdwa v18, v18 dst_sel:DWORD dst_unused:UNUSED_PAD src0_sel:WORD_1
	v_cmp_ne_u16_sdwa s[0:1], v25, v11 src0_sel:BYTE_0 src1_sel:DWORD
	s_waitcnt vmcnt(0)
	v_cvt_f32_f16_e32 v25, v16
	v_mul_f32_e32 v24, s12, v24
	v_cndmask_b32_e64 v34, v12, v24, s[0:1]
	v_and_b32_sdwa v24, v10, s6 dst_sel:DWORD dst_unused:UNUSED_PAD src0_sel:WORD_1 src1_sel:DWORD
	v_mul_f32_e32 v16, s12, v18
	v_cmp_ne_u16_e64 s[0:1], 1, v24
	v_cndmask_b32_e64 v16, v12, v16, s[0:1]
	v_mul_f32_e32 v18, s12, v25
	v_cmp_ne_u16_sdwa s[0:1], v10, v11 src0_sel:BYTE_3 src1_sel:DWORD
	v_cndmask_b32_e64 v10, v12, v18, s[0:1]
.LBB10_19:
	s_or_b64 exec, exec, s[4:5]
	v_add_u32_e32 v11, 0x200, v0
	v_cmp_gt_i32_e64 s[0:1], s14, v11
	v_mov_b32_e32 v28, 0xff800000
	v_mov_b32_e32 v35, 0xff800000
	v_mov_b32_e32 v18, 0xff800000
	v_mov_b32_e32 v11, 0xff800000
	s_and_saveexec_b64 s[4:5], s[0:1]
	s_cbranch_execz .LBB10_23
; %bb.20:
	global_load_dword v11, v[6:7], off offset:512
	global_load_dword v25, v[4:5], off offset:1026
	global_load_ushort v18, v[4:5], off offset:1030
	v_mov_b32_e32 v12, 1
	s_movk_i32 s6, 0xff
	v_mov_b32_e32 v24, 0xc61c4000
	v_mov_b32_e32 v28, 0xc61c4000
	s_waitcnt vmcnt(2)
	v_cmp_ne_u16_sdwa s[8:9], v11, v12 src0_sel:BYTE_0 src1_sel:DWORD
	s_and_saveexec_b64 s[0:1], s[8:9]
	s_cbranch_execz .LBB10_22
; %bb.21:
	global_load_ushort v26, v[4:5], off offset:1024
	s_waitcnt vmcnt(0)
	v_cvt_f32_f16_e32 v26, v26
	v_mul_f32_e32 v28, s12, v26
.LBB10_22:
	s_or_b64 exec, exec, s[0:1]
	s_waitcnt vmcnt(1)
	v_cvt_f32_f16_e32 v26, v25
	v_lshrrev_b32_e32 v27, 8, v11
	v_cvt_f32_f16_sdwa v25, v25 dst_sel:DWORD dst_unused:UNUSED_PAD src0_sel:WORD_1
	v_cmp_ne_u16_sdwa s[0:1], v27, v12 src0_sel:BYTE_0 src1_sel:DWORD
	s_waitcnt vmcnt(0)
	v_cvt_f32_f16_e32 v27, v18
	v_mul_f32_e32 v26, s12, v26
	v_cndmask_b32_e64 v35, v24, v26, s[0:1]
	v_and_b32_sdwa v26, v11, s6 dst_sel:DWORD dst_unused:UNUSED_PAD src0_sel:WORD_1 src1_sel:DWORD
	v_mul_f32_e32 v18, s12, v25
	v_cmp_ne_u16_e64 s[0:1], 1, v26
	v_cndmask_b32_e64 v18, v24, v18, s[0:1]
	v_mul_f32_e32 v25, s12, v27
	v_cmp_ne_u16_sdwa s[0:1], v11, v12 src0_sel:BYTE_3 src1_sel:DWORD
	v_cndmask_b32_e64 v11, v24, v25, s[0:1]
.LBB10_23:
	;; [unrolled: 45-line block ×3, first 2 shown]
	s_or_b64 exec, exec, s[4:5]
	v_add_u32_e32 v24, 0x300, v0
	v_cmp_gt_i32_e64 s[0:1], s14, v24
	v_mov_b32_e32 v31, 0xff800000
	v_mov_b32_e32 v37, 0xff800000
	;; [unrolled: 1-line block ×4, first 2 shown]
	s_and_saveexec_b64 s[4:5], s[0:1]
	s_cbranch_execz .LBB10_31
; %bb.28:
	global_load_dword v24, v[6:7], off offset:768
	global_load_dword v33, v[4:5], off offset:1538
	global_load_ushort v27, v[4:5], off offset:1542
	v_mov_b32_e32 v25, 1
	s_movk_i32 s6, 0xff
	v_mov_b32_e32 v29, 0xc61c4000
	v_mov_b32_e32 v31, 0xc61c4000
	s_waitcnt vmcnt(2)
	v_cmp_ne_u16_sdwa s[8:9], v24, v25 src0_sel:BYTE_0 src1_sel:DWORD
	s_and_saveexec_b64 s[0:1], s[8:9]
	s_cbranch_execz .LBB10_30
; %bb.29:
	global_load_ushort v31, v[4:5], off offset:1536
	s_waitcnt vmcnt(0)
	v_cvt_f32_f16_e32 v31, v31
	v_mul_f32_e32 v31, s12, v31
.LBB10_30:
	s_or_b64 exec, exec, s[0:1]
	s_waitcnt vmcnt(1)
	v_cvt_f32_f16_e32 v37, v33
	v_cvt_f32_f16_sdwa v33, v33 dst_sel:DWORD dst_unused:UNUSED_PAD src0_sel:WORD_1
	s_waitcnt vmcnt(0)
	v_cvt_f32_f16_e32 v39, v27
	v_lshrrev_b32_e32 v38, 8, v24
	v_mul_f32_e32 v37, s12, v37
	v_cmp_ne_u16_sdwa s[0:1], v38, v25 src0_sel:BYTE_0 src1_sel:DWORD
	v_and_b32_sdwa v38, v24, s6 dst_sel:DWORD dst_unused:UNUSED_PAD src0_sel:WORD_1 src1_sel:DWORD
	v_cndmask_b32_e64 v37, v29, v37, s[0:1]
	v_mul_f32_e32 v27, s12, v33
	v_cmp_ne_u16_e64 s[0:1], 1, v38
	v_cndmask_b32_e64 v27, v29, v27, s[0:1]
	v_mul_f32_e32 v33, s12, v39
	v_cmp_ne_u16_sdwa s[0:1], v24, v25 src0_sel:BYTE_3 src1_sel:DWORD
	v_cndmask_b32_e64 v24, v29, v33, s[0:1]
.LBB10_31:
	s_or_b64 exec, exec, s[4:5]
	v_add_u32_e32 v25, 0x380, v0
	v_cmp_gt_i32_e64 s[0:1], s14, v25
	v_mov_b32_e32 v33, 0xff800000
	v_mov_b32_e32 v38, 0xff800000
	;; [unrolled: 1-line block ×4, first 2 shown]
	s_and_saveexec_b64 s[4:5], s[0:1]
	s_cbranch_execz .LBB10_35
; %bb.32:
	global_load_dword v25, v[6:7], off offset:896
	global_load_dword v38, v[4:5], off offset:1794
	global_load_ushort v29, v[4:5], off offset:1798
	v_mov_b32_e32 v6, 1
	s_movk_i32 s6, 0xff
	v_mov_b32_e32 v7, 0xc61c4000
	v_mov_b32_e32 v33, 0xc61c4000
	s_waitcnt vmcnt(2)
	v_cmp_ne_u16_sdwa s[8:9], v25, v6 src0_sel:BYTE_0 src1_sel:DWORD
	s_and_saveexec_b64 s[0:1], s[8:9]
	s_cbranch_execz .LBB10_34
; %bb.33:
	global_load_ushort v4, v[4:5], off offset:1792
	s_waitcnt vmcnt(0)
	v_cvt_f32_f16_e32 v4, v4
	v_mul_f32_e32 v33, s12, v4
.LBB10_34:
	s_or_b64 exec, exec, s[0:1]
	s_waitcnt vmcnt(1)
	v_cvt_f32_f16_e32 v4, v38
	v_lshrrev_b32_e32 v5, 8, v25
	v_cvt_f32_f16_sdwa v39, v38 dst_sel:DWORD dst_unused:UNUSED_PAD src0_sel:WORD_1
	v_cmp_ne_u16_sdwa s[0:1], v5, v6 src0_sel:BYTE_0 src1_sel:DWORD
	s_waitcnt vmcnt(0)
	v_cvt_f32_f16_e32 v5, v29
	v_mul_f32_e32 v4, s12, v4
	v_cndmask_b32_e64 v38, v7, v4, s[0:1]
	v_and_b32_sdwa v4, v25, s6 dst_sel:DWORD dst_unused:UNUSED_PAD src0_sel:WORD_1 src1_sel:DWORD
	v_mul_f32_e32 v29, s12, v39
	v_cmp_ne_u16_e64 s[0:1], 1, v4
	v_cndmask_b32_e64 v29, v7, v29, s[0:1]
	v_mul_f32_e32 v4, s12, v5
	v_cmp_ne_u16_sdwa s[0:1], v25, v6 src0_sel:BYTE_3 src1_sel:DWORD
	v_cndmask_b32_e64 v25, v7, v4, s[0:1]
.LBB10_35:
	s_or_b64 exec, exec, s[4:5]
.LBB10_36:
	s_or_b64 exec, exec, s[2:3]
	v_cmp_gt_f32_e64 s[0:1], v17, v22
	v_cndmask_b32_e64 v4, v22, v17, s[0:1]
	v_cmp_gt_f32_e64 s[0:1], v4, v13
	v_cndmask_b32_e64 v4, v13, v4, s[0:1]
	;; [unrolled: 2-line block ×31, first 2 shown]
	v_mbcnt_lo_u32_b32 v4, -1, 0
	v_mbcnt_hi_u32_b32 v6, -1, v4
	v_and_b32_e32 v4, 0x60, v6
	v_add_u32_e32 v7, 32, v4
	v_xor_b32_e32 v4, 16, v6
	v_cmp_lt_i32_e64 s[0:1], v4, v7
	v_cndmask_b32_e64 v4, v6, v4, s[0:1]
	v_lshlrev_b32_e32 v4, 2, v4
	ds_bpermute_b32 v39, v4, v5
	s_mov_b32 s3, 0x3fb8aa3b
	s_mov_b32 s2, 0xc2ce8ed0
	;; [unrolled: 1-line block ×3, first 2 shown]
	v_mov_b32_e32 v55, 0x7f800000
	s_waitcnt lgkmcnt(0)
	v_cmp_lt_f32_e64 s[0:1], v5, v39
	v_cndmask_b32_e64 v5, v5, v39, s[0:1]
	v_xor_b32_e32 v39, 8, v6
	v_cmp_lt_i32_e64 s[0:1], v39, v7
	v_cndmask_b32_e64 v39, v6, v39, s[0:1]
	v_lshlrev_b32_e32 v48, 2, v39
	ds_bpermute_b32 v39, v48, v5
	s_waitcnt lgkmcnt(0)
	v_cmp_lt_f32_e64 s[0:1], v5, v39
	v_cndmask_b32_e64 v5, v5, v39, s[0:1]
	v_xor_b32_e32 v39, 4, v6
	v_cmp_lt_i32_e64 s[0:1], v39, v7
	v_cndmask_b32_e64 v39, v6, v39, s[0:1]
	v_lshlrev_b32_e32 v50, 2, v39
	ds_bpermute_b32 v39, v50, v5
	;; [unrolled: 8-line block ×4, first 2 shown]
	s_waitcnt lgkmcnt(0)
	v_cmp_lt_f32_e64 s[0:1], v5, v6
	v_cndmask_b32_e64 v51, v5, v6, s[0:1]
	v_sub_f32_e32 v5, v17, v51
	v_mul_f32_e32 v6, 0x3fb8aa3b, v5
	v_fma_f32 v7, v5, s3, -v6
	v_rndne_f32_e32 v17, v6
	v_fmac_f32_e32 v7, 0x32a5705f, v5
	v_sub_f32_e32 v6, v6, v17
	v_add_f32_e32 v6, v6, v7
	v_exp_f32_e32 v6, v6
	v_cvt_i32_f32_e32 v7, v17
	v_cmp_ngt_f32_e64 s[0:1], s2, v5
	v_sub_f32_e32 v1, v1, v51
	v_sub_f32_e32 v25, v25, v51
	v_ldexp_f32 v6, v6, v7
	v_sub_f32_e32 v7, v22, v51
	v_mul_f32_e32 v17, 0x3fb8aa3b, v7
	v_fma_f32 v22, v7, s3, -v17
	v_rndne_f32_e32 v39, v17
	v_fmac_f32_e32 v22, 0x32a5705f, v7
	v_sub_f32_e32 v17, v17, v39
	v_add_f32_e32 v17, v17, v22
	v_exp_f32_e32 v17, v17
	v_cvt_i32_f32_e32 v22, v39
	v_cndmask_b32_e64 v6, 0, v6, s[0:1]
	v_cmp_nlt_f32_e64 s[0:1], s4, v5
	v_cndmask_b32_e64 v53, v55, v6, s[0:1]
	v_sub_f32_e32 v6, v13, v51
	v_mul_f32_e32 v13, 0x3fb8aa3b, v6
	v_ldexp_f32 v5, v17, v22
	v_fma_f32 v17, v6, s3, -v13
	v_rndne_f32_e32 v22, v13
	v_fmac_f32_e32 v17, 0x32a5705f, v6
	v_sub_f32_e32 v13, v13, v22
	v_add_f32_e32 v13, v13, v17
	v_exp_f32_e32 v13, v13
	v_cvt_i32_f32_e32 v17, v22
	v_cmp_ngt_f32_e64 s[0:1], s2, v7
	v_cndmask_b32_e64 v5, 0, v5, s[0:1]
	v_cmp_nlt_f32_e64 s[0:1], s4, v7
	v_ldexp_f32 v7, v13, v17
	v_mul_f32_e32 v13, 0x3fb8aa3b, v1
	v_fma_f32 v17, v1, s3, -v13
	v_rndne_f32_e32 v22, v13
	v_fmac_f32_e32 v17, 0x32a5705f, v1
	v_sub_f32_e32 v13, v13, v22
	v_add_f32_e32 v13, v13, v17
	v_exp_f32_e32 v13, v13
	v_cvt_i32_f32_e32 v17, v22
	v_cndmask_b32_e64 v49, v55, v5, s[0:1]
	v_cmp_ngt_f32_e64 s[0:1], s2, v6
	v_cndmask_b32_e64 v7, 0, v7, s[0:1]
	v_cmp_nlt_f32_e64 s[0:1], s4, v6
	v_cndmask_b32_e64 v47, v55, v7, s[0:1]
	v_sub_f32_e32 v7, v19, v51
	v_ldexp_f32 v6, v13, v17
	v_mul_f32_e32 v13, 0x3fb8aa3b, v7
	v_fma_f32 v17, v7, s3, -v13
	v_rndne_f32_e32 v19, v13
	v_fmac_f32_e32 v17, 0x32a5705f, v7
	v_sub_f32_e32 v13, v13, v19
	v_add_f32_e32 v13, v13, v17
	v_exp_f32_e32 v13, v13
	v_cvt_i32_f32_e32 v17, v19
	v_cmp_ngt_f32_e64 s[0:1], s2, v1
	v_add_f32_e32 v5, v53, v49
	v_cndmask_b32_e64 v6, 0, v6, s[0:1]
	v_cmp_nlt_f32_e64 s[0:1], s4, v1
	v_add_f32_e32 v5, v5, v47
	v_cndmask_b32_e64 v46, v55, v6, s[0:1]
	v_sub_f32_e32 v6, v23, v51
	v_add_f32_e32 v1, v5, v46
	v_ldexp_f32 v5, v13, v17
	v_mul_f32_e32 v13, 0x3fb8aa3b, v6
	v_fma_f32 v17, v6, s3, -v13
	v_rndne_f32_e32 v19, v13
	v_fmac_f32_e32 v17, 0x32a5705f, v6
	v_sub_f32_e32 v13, v13, v19
	v_add_f32_e32 v13, v13, v17
	v_exp_f32_e32 v13, v13
	v_cvt_i32_f32_e32 v17, v19
	v_cmp_ngt_f32_e64 s[0:1], s2, v7
	v_cndmask_b32_e64 v5, 0, v5, s[0:1]
	v_cmp_nlt_f32_e64 s[0:1], s4, v7
	v_sub_f32_e32 v7, v14, v51
	v_cndmask_b32_e64 v45, v55, v5, s[0:1]
	v_ldexp_f32 v5, v13, v17
	v_mul_f32_e32 v13, 0x3fb8aa3b, v7
	v_fma_f32 v14, v7, s3, -v13
	v_rndne_f32_e32 v17, v13
	v_fmac_f32_e32 v14, 0x32a5705f, v7
	v_sub_f32_e32 v13, v13, v17
	v_add_f32_e32 v13, v13, v14
	v_exp_f32_e32 v13, v13
	v_cvt_i32_f32_e32 v14, v17
	v_cmp_ngt_f32_e64 s[0:1], s2, v6
	v_cndmask_b32_e64 v5, 0, v5, s[0:1]
	v_cmp_nlt_f32_e64 s[0:1], s4, v6
	v_sub_f32_e32 v6, v8, v51
	v_mul_f32_e32 v8, 0x3fb8aa3b, v6
	v_cndmask_b32_e64 v44, v55, v5, s[0:1]
	v_ldexp_f32 v5, v13, v14
	v_fma_f32 v13, v6, s3, -v8
	v_rndne_f32_e32 v14, v8
	v_fmac_f32_e32 v13, 0x32a5705f, v6
	v_sub_f32_e32 v8, v8, v14
	v_add_f32_e32 v8, v8, v13
	v_exp_f32_e32 v8, v8
	v_cvt_i32_f32_e32 v13, v14
	v_cmp_ngt_f32_e64 s[0:1], s2, v7
	v_cndmask_b32_e64 v5, 0, v5, s[0:1]
	v_cmp_nlt_f32_e64 s[0:1], s4, v7
	v_sub_f32_e32 v7, v20, v51
	v_cndmask_b32_e64 v43, v55, v5, s[0:1]
	v_ldexp_f32 v5, v8, v13
	v_mul_f32_e32 v8, 0x3fb8aa3b, v7
	v_fma_f32 v13, v7, s3, -v8
	v_rndne_f32_e32 v14, v8
	v_fmac_f32_e32 v13, 0x32a5705f, v7
	v_sub_f32_e32 v8, v8, v14
	v_add_f32_e32 v8, v8, v13
	v_exp_f32_e32 v8, v8
	v_cvt_i32_f32_e32 v13, v14
	v_cmp_ngt_f32_e64 s[0:1], s2, v6
	v_cndmask_b32_e64 v5, 0, v5, s[0:1]
	v_cmp_nlt_f32_e64 s[0:1], s4, v6
	v_sub_f32_e32 v6, v32, v51
	v_cndmask_b32_e64 v42, v55, v5, s[0:1]
	v_ldexp_f32 v5, v8, v13
	v_mul_f32_e32 v8, 0x3fb8aa3b, v6
	;; [unrolled: 14-line block ×21, first 2 shown]
	v_fma_f32 v24, v7, s3, -v8
	v_rndne_f32_e32 v26, v8
	v_fmac_f32_e32 v24, 0x32a5705f, v7
	v_sub_f32_e32 v8, v8, v26
	v_add_f32_e32 v8, v8, v24
	v_exp_f32_e32 v24, v8
	v_cvt_i32_f32_e32 v26, v26
	v_cmp_ngt_f32_e64 s[0:1], s2, v6
	v_add_f32_e32 v1, v1, v45
	v_cndmask_b32_e64 v5, 0, v5, s[0:1]
	v_cmp_nlt_f32_e64 s[0:1], s4, v6
	v_sub_f32_e32 v6, v38, v51
	v_add_f32_e32 v1, v1, v44
	v_cndmask_b32_e64 v8, v55, v5, s[0:1]
	v_ldexp_f32 v5, v24, v26
	v_mul_f32_e32 v24, 0x3fb8aa3b, v6
	v_add_f32_e32 v1, v1, v43
	v_fma_f32 v26, v6, s3, -v24
	v_rndne_f32_e32 v27, v24
	v_add_f32_e32 v1, v1, v42
	v_fmac_f32_e32 v26, 0x32a5705f, v6
	v_sub_f32_e32 v24, v24, v27
	v_add_f32_e32 v1, v1, v41
	v_add_f32_e32 v24, v24, v26
	;; [unrolled: 1-line block ×3, first 2 shown]
	v_exp_f32_e32 v24, v24
	v_cvt_i32_f32_e32 v26, v27
	v_add_f32_e32 v1, v1, v39
	v_add_f32_e32 v1, v1, v32
	v_cmp_ngt_f32_e64 s[0:1], s2, v7
	v_add_f32_e32 v1, v1, v23
	v_cndmask_b32_e64 v5, 0, v5, s[0:1]
	v_cmp_nlt_f32_e64 s[0:1], s4, v7
	v_add_f32_e32 v1, v1, v22
	v_cndmask_b32_e64 v7, v55, v5, s[0:1]
	v_ldexp_f32 v5, v24, v26
	v_sub_f32_e32 v24, v29, v51
	v_add_f32_e32 v1, v1, v21
	v_mul_f32_e32 v26, 0x3fb8aa3b, v24
	v_add_f32_e32 v1, v1, v20
	v_fma_f32 v27, v24, s3, -v26
	v_rndne_f32_e32 v28, v26
	v_add_f32_e32 v1, v1, v19
	v_fmac_f32_e32 v27, 0x32a5705f, v24
	v_sub_f32_e32 v26, v26, v28
	v_add_f32_e32 v1, v1, v18
	v_add_f32_e32 v26, v26, v27
	v_add_f32_e32 v1, v1, v17
	v_exp_f32_e32 v26, v26
	v_cvt_i32_f32_e32 v27, v28
	v_add_f32_e32 v1, v1, v16
	v_add_f32_e32 v1, v1, v15
	v_cmp_ngt_f32_e64 s[0:1], s2, v6
	v_add_f32_e32 v1, v1, v14
	v_cndmask_b32_e64 v5, 0, v5, s[0:1]
	v_cmp_nlt_f32_e64 s[0:1], s4, v6
	v_add_f32_e32 v1, v1, v13
	v_cndmask_b32_e64 v6, v55, v5, s[0:1]
	v_ldexp_f32 v5, v26, v27
	v_mul_f32_e32 v26, 0x3fb8aa3b, v25
	v_add_f32_e32 v1, v1, v12
	v_fma_f32 v27, v25, s3, -v26
	v_rndne_f32_e32 v28, v26
	v_add_f32_e32 v1, v1, v11
	v_fmac_f32_e32 v27, 0x32a5705f, v25
	v_sub_f32_e32 v26, v26, v28
	v_add_f32_e32 v1, v1, v10
	v_add_f32_e32 v26, v26, v27
	;; [unrolled: 1-line block ×3, first 2 shown]
	v_exp_f32_e32 v26, v26
	v_cvt_i32_f32_e32 v27, v28
	v_add_f32_e32 v1, v1, v8
	v_cmp_ngt_f32_e64 s[0:1], s2, v24
	v_add_f32_e32 v1, v1, v7
	v_cndmask_b32_e64 v5, 0, v5, s[0:1]
	v_cmp_nlt_f32_e64 s[0:1], s4, v24
	v_add_f32_e32 v1, v1, v6
	v_cndmask_b32_e64 v5, v55, v5, s[0:1]
	v_add_f32_e32 v24, v1, v5
	v_ldexp_f32 v1, v26, v27
	v_cmp_ngt_f32_e64 s[0:1], s2, v25
	v_cndmask_b32_e64 v1, 0, v1, s[0:1]
	v_cmp_nlt_f32_e64 s[0:1], s4, v25
	v_cndmask_b32_e64 v1, v55, v1, s[0:1]
	v_add_f32_e32 v24, v24, v1
	ds_bpermute_b32 v4, v4, v24
	v_cmp_gt_i32_e64 s[0:1], s14, v0
	s_and_b64 s[0:1], vcc, s[0:1]
	s_waitcnt lgkmcnt(0)
	v_add_f32_e32 v4, v24, v4
	ds_bpermute_b32 v24, v48, v4
	s_waitcnt lgkmcnt(0)
	v_add_f32_e32 v4, v4, v24
	ds_bpermute_b32 v24, v50, v4
	;; [unrolled: 3-line block ×4, first 2 shown]
	s_and_saveexec_b64 s[2:3], s[0:1]
	s_cbranch_execz .LBB10_109
; %bb.37:
	s_mov_b32 s0, 0xc61c4000
	v_cmp_neq_f32_e64 s[0:1], s0, v51
	s_waitcnt lgkmcnt(0)
	v_add_f32_e32 v4, v4, v24
	v_mov_b32_e32 v24, 0
	v_mov_b32_e32 v25, 0
	s_and_saveexec_b64 s[2:3], s[0:1]
	s_cbranch_execz .LBB10_39
; %bb.38:
	v_div_scale_f32 v25, s[4:5], v4, v4, v53
	v_rcp_f32_e32 v26, v25
	v_div_scale_f32 v27, vcc, v53, v4, v53
	v_fma_f32 v28, -v25, v26, 1.0
	v_fmac_f32_e32 v26, v28, v26
	v_mul_f32_e32 v28, v27, v26
	v_fma_f32 v29, -v25, v28, v27
	v_fmac_f32_e32 v28, v29, v26
	v_fma_f32 v25, -v25, v28, v27
	v_div_fmas_f32 v25, v25, v26, v28
	v_div_fixup_f32 v25, v25, v4, v53
	v_cvt_f16_f32_e32 v25, v25
.LBB10_39:
	s_or_b64 exec, exec, s[2:3]
	s_and_saveexec_b64 s[2:3], s[0:1]
	s_cbranch_execz .LBB10_41
; %bb.40:
	v_div_scale_f32 v24, s[4:5], v4, v4, v49
	v_rcp_f32_e32 v26, v24
	v_div_scale_f32 v27, vcc, v49, v4, v49
	v_fma_f32 v28, -v24, v26, 1.0
	v_fmac_f32_e32 v26, v28, v26
	v_mul_f32_e32 v28, v27, v26
	v_fma_f32 v29, -v24, v28, v27
	v_fmac_f32_e32 v28, v29, v26
	v_fma_f32 v24, -v24, v28, v27
	v_div_fmas_f32 v24, v24, v26, v28
	v_div_fixup_f32 v24, v24, v4, v49
	v_cvt_f16_f32_e32 v24, v24
.LBB10_41:
	s_or_b64 exec, exec, s[2:3]
	v_mov_b32_e32 v26, 0
	v_mov_b32_e32 v27, 0
	s_and_saveexec_b64 s[2:3], s[0:1]
	s_cbranch_execz .LBB10_43
; %bb.42:
	v_div_scale_f32 v27, s[4:5], v4, v4, v47
	v_rcp_f32_e32 v28, v27
	v_div_scale_f32 v29, vcc, v47, v4, v47
	v_fma_f32 v30, -v27, v28, 1.0
	v_fmac_f32_e32 v28, v30, v28
	v_mul_f32_e32 v30, v29, v28
	v_fma_f32 v31, -v27, v30, v29
	v_fmac_f32_e32 v30, v31, v28
	v_fma_f32 v27, -v27, v30, v29
	v_div_fmas_f32 v27, v27, v28, v30
	v_div_fixup_f32 v27, v27, v4, v47
	v_cvt_f16_f32_e32 v27, v27
.LBB10_43:
	s_or_b64 exec, exec, s[2:3]
	s_and_saveexec_b64 s[2:3], s[0:1]
	s_cbranch_execz .LBB10_45
; %bb.44:
	v_div_scale_f32 v26, s[4:5], v4, v4, v46
	v_rcp_f32_e32 v28, v26
	v_div_scale_f32 v29, vcc, v46, v4, v46
	v_fma_f32 v30, -v26, v28, 1.0
	v_fmac_f32_e32 v28, v30, v28
	v_mul_f32_e32 v30, v29, v28
	v_fma_f32 v31, -v26, v30, v29
	v_fmac_f32_e32 v30, v31, v28
	v_fma_f32 v26, -v26, v30, v29
	v_div_fmas_f32 v26, v26, v28, v30
	v_div_fixup_f32 v26, v26, v4, v46
	v_cvt_f16_f32_e32 v26, v26
.LBB10_45:
	s_or_b64 exec, exec, s[2:3]
	v_mov_b32_e32 v28, s17
	v_add_co_u32_e32 v2, vcc, s16, v2
	s_mov_b32 s2, 0x5040100
	v_addc_co_u32_e32 v3, vcc, v28, v3, vcc
	v_perm_b32 v27, v26, v27, s2
	v_perm_b32 v26, v24, v25, s2
	v_add_u32_e32 v24, 0x80, v0
	v_cmp_gt_u32_e32 vcc, s14, v24
	global_store_dwordx2 v[2:3], v[26:27], off
	s_and_b64 exec, exec, vcc
	s_cbranch_execz .LBB10_109
; %bb.46:
	v_mov_b32_e32 v24, 0
	v_mov_b32_e32 v25, 0
	s_and_saveexec_b64 s[2:3], s[0:1]
	s_cbranch_execz .LBB10_48
; %bb.47:
	v_div_scale_f32 v25, s[4:5], v4, v4, v45
	v_rcp_f32_e32 v26, v25
	v_div_scale_f32 v27, vcc, v45, v4, v45
	v_fma_f32 v28, -v25, v26, 1.0
	v_fmac_f32_e32 v26, v28, v26
	v_mul_f32_e32 v28, v27, v26
	v_fma_f32 v29, -v25, v28, v27
	v_fmac_f32_e32 v28, v29, v26
	v_fma_f32 v25, -v25, v28, v27
	v_div_fmas_f32 v25, v25, v26, v28
	v_div_fixup_f32 v25, v25, v4, v45
	v_cvt_f16_f32_e32 v25, v25
.LBB10_48:
	s_or_b64 exec, exec, s[2:3]
	s_and_saveexec_b64 s[2:3], s[0:1]
	s_cbranch_execz .LBB10_50
; %bb.49:
	v_div_scale_f32 v24, s[4:5], v4, v4, v44
	v_rcp_f32_e32 v26, v24
	v_div_scale_f32 v27, vcc, v44, v4, v44
	v_fma_f32 v28, -v24, v26, 1.0
	v_fmac_f32_e32 v26, v28, v26
	v_mul_f32_e32 v28, v27, v26
	v_fma_f32 v29, -v24, v28, v27
	v_fmac_f32_e32 v28, v29, v26
	v_fma_f32 v24, -v24, v28, v27
	v_div_fmas_f32 v24, v24, v26, v28
	v_div_fixup_f32 v24, v24, v4, v44
	v_cvt_f16_f32_e32 v24, v24
.LBB10_50:
	s_or_b64 exec, exec, s[2:3]
	v_mov_b32_e32 v26, 0
	v_mov_b32_e32 v27, 0
	s_and_saveexec_b64 s[2:3], s[0:1]
	s_cbranch_execz .LBB10_52
; %bb.51:
	v_div_scale_f32 v27, s[4:5], v4, v4, v43
	v_rcp_f32_e32 v28, v27
	v_div_scale_f32 v29, vcc, v43, v4, v43
	v_fma_f32 v30, -v27, v28, 1.0
	v_fmac_f32_e32 v28, v30, v28
	v_mul_f32_e32 v30, v29, v28
	v_fma_f32 v31, -v27, v30, v29
	v_fmac_f32_e32 v30, v31, v28
	v_fma_f32 v27, -v27, v30, v29
	v_div_fmas_f32 v27, v27, v28, v30
	v_div_fixup_f32 v27, v27, v4, v43
	v_cvt_f16_f32_e32 v27, v27
.LBB10_52:
	s_or_b64 exec, exec, s[2:3]
	s_and_saveexec_b64 s[2:3], s[0:1]
	s_cbranch_execz .LBB10_54
; %bb.53:
	v_div_scale_f32 v26, s[4:5], v4, v4, v42
	v_rcp_f32_e32 v28, v26
	v_div_scale_f32 v29, vcc, v42, v4, v42
	v_fma_f32 v30, -v26, v28, 1.0
	v_fmac_f32_e32 v28, v30, v28
	v_mul_f32_e32 v30, v29, v28
	v_fma_f32 v31, -v26, v30, v29
	v_fmac_f32_e32 v30, v31, v28
	v_fma_f32 v26, -v26, v30, v29
	v_div_fmas_f32 v26, v26, v28, v30
	v_div_fixup_f32 v26, v26, v4, v42
	v_cvt_f16_f32_e32 v26, v26
.LBB10_54:
	s_or_b64 exec, exec, s[2:3]
	s_mov_b32 s2, 0x5040100
	v_perm_b32 v27, v26, v27, s2
	v_perm_b32 v26, v24, v25, s2
	v_add_u32_e32 v24, 0x100, v0
	v_cmp_gt_u32_e32 vcc, s14, v24
	global_store_dwordx2 v[2:3], v[26:27], off offset:256
	s_and_b64 exec, exec, vcc
	s_cbranch_execz .LBB10_109
; %bb.55:
	v_mov_b32_e32 v24, 0
	v_mov_b32_e32 v25, 0
	s_and_saveexec_b64 s[2:3], s[0:1]
	s_cbranch_execz .LBB10_57
; %bb.56:
	v_div_scale_f32 v25, s[4:5], v4, v4, v41
	v_rcp_f32_e32 v26, v25
	v_div_scale_f32 v27, vcc, v41, v4, v41
	v_fma_f32 v28, -v25, v26, 1.0
	v_fmac_f32_e32 v26, v28, v26
	v_mul_f32_e32 v28, v27, v26
	v_fma_f32 v29, -v25, v28, v27
	v_fmac_f32_e32 v28, v29, v26
	v_fma_f32 v25, -v25, v28, v27
	v_div_fmas_f32 v25, v25, v26, v28
	v_div_fixup_f32 v25, v25, v4, v41
	v_cvt_f16_f32_e32 v25, v25
.LBB10_57:
	s_or_b64 exec, exec, s[2:3]
	s_and_saveexec_b64 s[2:3], s[0:1]
	s_cbranch_execz .LBB10_59
; %bb.58:
	v_div_scale_f32 v24, s[4:5], v4, v4, v40
	v_rcp_f32_e32 v26, v24
	v_div_scale_f32 v27, vcc, v40, v4, v40
	v_fma_f32 v28, -v24, v26, 1.0
	v_fmac_f32_e32 v26, v28, v26
	v_mul_f32_e32 v28, v27, v26
	v_fma_f32 v29, -v24, v28, v27
	v_fmac_f32_e32 v28, v29, v26
	v_fma_f32 v24, -v24, v28, v27
	v_div_fmas_f32 v24, v24, v26, v28
	v_div_fixup_f32 v24, v24, v4, v40
	v_cvt_f16_f32_e32 v24, v24
.LBB10_59:
	s_or_b64 exec, exec, s[2:3]
	v_mov_b32_e32 v26, 0
	v_mov_b32_e32 v27, 0
	s_and_saveexec_b64 s[2:3], s[0:1]
	s_cbranch_execz .LBB10_61
; %bb.60:
	v_div_scale_f32 v27, s[4:5], v4, v4, v39
	v_rcp_f32_e32 v28, v27
	v_div_scale_f32 v29, vcc, v39, v4, v39
	v_fma_f32 v30, -v27, v28, 1.0
	v_fmac_f32_e32 v28, v30, v28
	v_mul_f32_e32 v30, v29, v28
	v_fma_f32 v31, -v27, v30, v29
	v_fmac_f32_e32 v30, v31, v28
	v_fma_f32 v27, -v27, v30, v29
	v_div_fmas_f32 v27, v27, v28, v30
	v_div_fixup_f32 v27, v27, v4, v39
	v_cvt_f16_f32_e32 v27, v27
.LBB10_61:
	s_or_b64 exec, exec, s[2:3]
	s_and_saveexec_b64 s[2:3], s[0:1]
	s_cbranch_execz .LBB10_63
; %bb.62:
	v_div_scale_f32 v26, s[4:5], v4, v4, v32
	v_rcp_f32_e32 v28, v26
	v_div_scale_f32 v29, vcc, v32, v4, v32
	v_fma_f32 v30, -v26, v28, 1.0
	v_fmac_f32_e32 v28, v30, v28
	v_mul_f32_e32 v30, v29, v28
	v_fma_f32 v31, -v26, v30, v29
	v_fmac_f32_e32 v30, v31, v28
	v_fma_f32 v26, -v26, v30, v29
	v_div_fmas_f32 v26, v26, v28, v30
	v_div_fixup_f32 v26, v26, v4, v32
	v_cvt_f16_f32_e32 v26, v26
.LBB10_63:
	s_or_b64 exec, exec, s[2:3]
	s_mov_b32 s2, 0x5040100
	v_perm_b32 v27, v26, v27, s2
	v_perm_b32 v26, v24, v25, s2
	v_add_u32_e32 v24, 0x180, v0
	v_cmp_gt_u32_e32 vcc, s14, v24
	global_store_dwordx2 v[2:3], v[26:27], off offset:512
	s_and_b64 exec, exec, vcc
	s_cbranch_execz .LBB10_109
; %bb.64:
	v_mov_b32_e32 v24, 0
	v_mov_b32_e32 v25, 0
	s_and_saveexec_b64 s[2:3], s[0:1]
	s_cbranch_execz .LBB10_66
; %bb.65:
	v_div_scale_f32 v25, s[4:5], v4, v4, v23
	v_rcp_f32_e32 v26, v25
	v_div_scale_f32 v27, vcc, v23, v4, v23
	v_fma_f32 v28, -v25, v26, 1.0
	v_fmac_f32_e32 v26, v28, v26
	v_mul_f32_e32 v28, v27, v26
	v_fma_f32 v29, -v25, v28, v27
	v_fmac_f32_e32 v28, v29, v26
	v_fma_f32 v25, -v25, v28, v27
	v_div_fmas_f32 v25, v25, v26, v28
	v_div_fixup_f32 v23, v25, v4, v23
	v_cvt_f16_f32_e32 v25, v23
.LBB10_66:
	s_or_b64 exec, exec, s[2:3]
	s_and_saveexec_b64 s[2:3], s[0:1]
	s_cbranch_execz .LBB10_68
; %bb.67:
	v_div_scale_f32 v23, s[4:5], v4, v4, v22
	v_rcp_f32_e32 v24, v23
	v_div_scale_f32 v26, vcc, v22, v4, v22
	v_fma_f32 v27, -v23, v24, 1.0
	v_fmac_f32_e32 v24, v27, v24
	v_mul_f32_e32 v27, v26, v24
	v_fma_f32 v28, -v23, v27, v26
	v_fmac_f32_e32 v27, v28, v24
	v_fma_f32 v23, -v23, v27, v26
	v_div_fmas_f32 v23, v23, v24, v27
	v_div_fixup_f32 v22, v23, v4, v22
	v_cvt_f16_f32_e32 v24, v22
.LBB10_68:
	s_or_b64 exec, exec, s[2:3]
	v_mov_b32_e32 v22, 0
	v_mov_b32_e32 v23, 0
	s_and_saveexec_b64 s[2:3], s[0:1]
	s_cbranch_execz .LBB10_70
; %bb.69:
	v_div_scale_f32 v23, s[4:5], v4, v4, v21
	v_rcp_f32_e32 v26, v23
	v_div_scale_f32 v27, vcc, v21, v4, v21
	v_fma_f32 v28, -v23, v26, 1.0
	v_fmac_f32_e32 v26, v28, v26
	v_mul_f32_e32 v28, v27, v26
	v_fma_f32 v29, -v23, v28, v27
	v_fmac_f32_e32 v28, v29, v26
	v_fma_f32 v23, -v23, v28, v27
	v_div_fmas_f32 v23, v23, v26, v28
	v_div_fixup_f32 v21, v23, v4, v21
	v_cvt_f16_f32_e32 v23, v21
.LBB10_70:
	s_or_b64 exec, exec, s[2:3]
	s_and_saveexec_b64 s[2:3], s[0:1]
	s_cbranch_execz .LBB10_72
; %bb.71:
	v_div_scale_f32 v21, s[4:5], v4, v4, v20
	v_rcp_f32_e32 v22, v21
	v_div_scale_f32 v26, vcc, v20, v4, v20
	v_fma_f32 v27, -v21, v22, 1.0
	v_fmac_f32_e32 v22, v27, v22
	v_mul_f32_e32 v27, v26, v22
	v_fma_f32 v28, -v21, v27, v26
	v_fmac_f32_e32 v27, v28, v22
	v_fma_f32 v21, -v21, v27, v26
	v_div_fmas_f32 v21, v21, v22, v27
	v_div_fixup_f32 v20, v21, v4, v20
	v_cvt_f16_f32_e32 v22, v20
.LBB10_72:
	s_or_b64 exec, exec, s[2:3]
	s_mov_b32 s2, 0x5040100
	v_perm_b32 v21, v22, v23, s2
	v_perm_b32 v20, v24, v25, s2
	global_store_dwordx2 v[2:3], v[20:21], off offset:768
	v_add_u32_e32 v20, 0x200, v0
	v_cmp_gt_u32_e32 vcc, s14, v20
	s_and_b64 exec, exec, vcc
	s_cbranch_execz .LBB10_109
; %bb.73:
	v_mov_b32_e32 v20, 0
	v_mov_b32_e32 v21, 0
	s_and_saveexec_b64 s[2:3], s[0:1]
	s_cbranch_execz .LBB10_75
; %bb.74:
	v_div_scale_f32 v21, s[4:5], v4, v4, v19
	v_rcp_f32_e32 v22, v21
	v_div_scale_f32 v23, vcc, v19, v4, v19
	v_fma_f32 v24, -v21, v22, 1.0
	v_fmac_f32_e32 v22, v24, v22
	v_mul_f32_e32 v24, v23, v22
	v_fma_f32 v25, -v21, v24, v23
	v_fmac_f32_e32 v24, v25, v22
	v_fma_f32 v21, -v21, v24, v23
	v_div_fmas_f32 v21, v21, v22, v24
	v_div_fixup_f32 v19, v21, v4, v19
	v_cvt_f16_f32_e32 v21, v19
.LBB10_75:
	s_or_b64 exec, exec, s[2:3]
	s_and_saveexec_b64 s[2:3], s[0:1]
	s_cbranch_execz .LBB10_77
; %bb.76:
	v_div_scale_f32 v19, s[4:5], v4, v4, v18
	v_rcp_f32_e32 v20, v19
	v_div_scale_f32 v22, vcc, v18, v4, v18
	v_fma_f32 v23, -v19, v20, 1.0
	v_fmac_f32_e32 v20, v23, v20
	v_mul_f32_e32 v23, v22, v20
	v_fma_f32 v24, -v19, v23, v22
	v_fmac_f32_e32 v23, v24, v20
	v_fma_f32 v19, -v19, v23, v22
	v_div_fmas_f32 v19, v19, v20, v23
	v_div_fixup_f32 v18, v19, v4, v18
	v_cvt_f16_f32_e32 v20, v18
.LBB10_77:
	s_or_b64 exec, exec, s[2:3]
	v_mov_b32_e32 v18, 0
	v_mov_b32_e32 v19, 0
	s_and_saveexec_b64 s[2:3], s[0:1]
	s_cbranch_execz .LBB10_79
; %bb.78:
	v_div_scale_f32 v19, s[4:5], v4, v4, v17
	v_rcp_f32_e32 v22, v19
	v_div_scale_f32 v23, vcc, v17, v4, v17
	v_fma_f32 v24, -v19, v22, 1.0
	v_fmac_f32_e32 v22, v24, v22
	v_mul_f32_e32 v24, v23, v22
	v_fma_f32 v25, -v19, v24, v23
	v_fmac_f32_e32 v24, v25, v22
	v_fma_f32 v19, -v19, v24, v23
	v_div_fmas_f32 v19, v19, v22, v24
	v_div_fixup_f32 v17, v19, v4, v17
	v_cvt_f16_f32_e32 v19, v17
.LBB10_79:
	s_or_b64 exec, exec, s[2:3]
	s_and_saveexec_b64 s[2:3], s[0:1]
	s_cbranch_execz .LBB10_81
; %bb.80:
	v_div_scale_f32 v17, s[4:5], v4, v4, v16
	v_rcp_f32_e32 v18, v17
	v_div_scale_f32 v22, vcc, v16, v4, v16
	v_fma_f32 v23, -v17, v18, 1.0
	v_fmac_f32_e32 v18, v23, v18
	v_mul_f32_e32 v23, v22, v18
	v_fma_f32 v24, -v17, v23, v22
	v_fmac_f32_e32 v23, v24, v18
	v_fma_f32 v17, -v17, v23, v22
	v_div_fmas_f32 v17, v17, v18, v23
	v_div_fixup_f32 v16, v17, v4, v16
	v_cvt_f16_f32_e32 v18, v16
.LBB10_81:
	s_or_b64 exec, exec, s[2:3]
	s_mov_b32 s2, 0x5040100
	v_perm_b32 v17, v18, v19, s2
	v_perm_b32 v16, v20, v21, s2
	global_store_dwordx2 v[2:3], v[16:17], off offset:1024
	v_add_u32_e32 v16, 0x280, v0
	v_cmp_gt_u32_e32 vcc, s14, v16
	s_and_b64 exec, exec, vcc
	s_cbranch_execz .LBB10_109
; %bb.82:
	v_mov_b32_e32 v16, 0
	v_mov_b32_e32 v17, 0
	s_and_saveexec_b64 s[2:3], s[0:1]
	s_cbranch_execz .LBB10_84
; %bb.83:
	v_div_scale_f32 v17, s[4:5], v4, v4, v15
	v_rcp_f32_e32 v18, v17
	v_div_scale_f32 v19, vcc, v15, v4, v15
	v_fma_f32 v20, -v17, v18, 1.0
	v_fmac_f32_e32 v18, v20, v18
	v_mul_f32_e32 v20, v19, v18
	v_fma_f32 v21, -v17, v20, v19
	v_fmac_f32_e32 v20, v21, v18
	v_fma_f32 v17, -v17, v20, v19
	v_div_fmas_f32 v17, v17, v18, v20
	v_div_fixup_f32 v15, v17, v4, v15
	v_cvt_f16_f32_e32 v17, v15
.LBB10_84:
	s_or_b64 exec, exec, s[2:3]
	s_and_saveexec_b64 s[2:3], s[0:1]
	s_cbranch_execz .LBB10_86
; %bb.85:
	v_div_scale_f32 v15, s[4:5], v4, v4, v14
	v_rcp_f32_e32 v16, v15
	v_div_scale_f32 v18, vcc, v14, v4, v14
	v_fma_f32 v19, -v15, v16, 1.0
	v_fmac_f32_e32 v16, v19, v16
	v_mul_f32_e32 v19, v18, v16
	v_fma_f32 v20, -v15, v19, v18
	v_fmac_f32_e32 v19, v20, v16
	v_fma_f32 v15, -v15, v19, v18
	v_div_fmas_f32 v15, v15, v16, v19
	v_div_fixup_f32 v14, v15, v4, v14
	v_cvt_f16_f32_e32 v16, v14
.LBB10_86:
	s_or_b64 exec, exec, s[2:3]
	v_mov_b32_e32 v14, 0
	v_mov_b32_e32 v15, 0
	s_and_saveexec_b64 s[2:3], s[0:1]
	s_cbranch_execz .LBB10_88
; %bb.87:
	v_div_scale_f32 v15, s[4:5], v4, v4, v13
	v_rcp_f32_e32 v18, v15
	v_div_scale_f32 v19, vcc, v13, v4, v13
	v_fma_f32 v20, -v15, v18, 1.0
	v_fmac_f32_e32 v18, v20, v18
	v_mul_f32_e32 v20, v19, v18
	v_fma_f32 v21, -v15, v20, v19
	v_fmac_f32_e32 v20, v21, v18
	v_fma_f32 v15, -v15, v20, v19
	v_div_fmas_f32 v15, v15, v18, v20
	v_div_fixup_f32 v13, v15, v4, v13
	v_cvt_f16_f32_e32 v15, v13
.LBB10_88:
	s_or_b64 exec, exec, s[2:3]
	s_and_saveexec_b64 s[2:3], s[0:1]
	s_cbranch_execz .LBB10_90
; %bb.89:
	v_div_scale_f32 v13, s[4:5], v4, v4, v12
	v_rcp_f32_e32 v14, v13
	v_div_scale_f32 v18, vcc, v12, v4, v12
	v_fma_f32 v19, -v13, v14, 1.0
	v_fmac_f32_e32 v14, v19, v14
	v_mul_f32_e32 v19, v18, v14
	v_fma_f32 v20, -v13, v19, v18
	v_fmac_f32_e32 v19, v20, v14
	v_fma_f32 v13, -v13, v19, v18
	v_div_fmas_f32 v13, v13, v14, v19
	v_div_fixup_f32 v12, v13, v4, v12
	v_cvt_f16_f32_e32 v14, v12
.LBB10_90:
	s_or_b64 exec, exec, s[2:3]
	s_mov_b32 s2, 0x5040100
	v_perm_b32 v13, v14, v15, s2
	v_perm_b32 v12, v16, v17, s2
	global_store_dwordx2 v[2:3], v[12:13], off offset:1280
	v_add_u32_e32 v12, 0x300, v0
	v_cmp_gt_u32_e32 vcc, s14, v12
	s_and_b64 exec, exec, vcc
	s_cbranch_execz .LBB10_109
; %bb.91:
	v_mov_b32_e32 v12, 0
	v_mov_b32_e32 v13, 0
	s_and_saveexec_b64 s[2:3], s[0:1]
	s_cbranch_execz .LBB10_93
; %bb.92:
	v_div_scale_f32 v13, s[4:5], v4, v4, v11
	v_rcp_f32_e32 v14, v13
	v_div_scale_f32 v15, vcc, v11, v4, v11
	v_fma_f32 v16, -v13, v14, 1.0
	v_fmac_f32_e32 v14, v16, v14
	v_mul_f32_e32 v16, v15, v14
	v_fma_f32 v17, -v13, v16, v15
	v_fmac_f32_e32 v16, v17, v14
	v_fma_f32 v13, -v13, v16, v15
	v_div_fmas_f32 v13, v13, v14, v16
	v_div_fixup_f32 v11, v13, v4, v11
	v_cvt_f16_f32_e32 v13, v11
.LBB10_93:
	s_or_b64 exec, exec, s[2:3]
	s_and_saveexec_b64 s[2:3], s[0:1]
	s_cbranch_execz .LBB10_95
; %bb.94:
	v_div_scale_f32 v11, s[4:5], v4, v4, v10
	v_rcp_f32_e32 v12, v11
	v_div_scale_f32 v14, vcc, v10, v4, v10
	v_fma_f32 v15, -v11, v12, 1.0
	v_fmac_f32_e32 v12, v15, v12
	v_mul_f32_e32 v15, v14, v12
	v_fma_f32 v16, -v11, v15, v14
	v_fmac_f32_e32 v15, v16, v12
	v_fma_f32 v11, -v11, v15, v14
	v_div_fmas_f32 v11, v11, v12, v15
	v_div_fixup_f32 v10, v11, v4, v10
	v_cvt_f16_f32_e32 v12, v10
.LBB10_95:
	s_or_b64 exec, exec, s[2:3]
	v_mov_b32_e32 v10, 0
	v_mov_b32_e32 v11, 0
	s_and_saveexec_b64 s[2:3], s[0:1]
	s_cbranch_execz .LBB10_97
; %bb.96:
	v_div_scale_f32 v11, s[4:5], v4, v4, v9
	v_rcp_f32_e32 v14, v11
	v_div_scale_f32 v15, vcc, v9, v4, v9
	v_fma_f32 v16, -v11, v14, 1.0
	v_fmac_f32_e32 v14, v16, v14
	v_mul_f32_e32 v16, v15, v14
	v_fma_f32 v17, -v11, v16, v15
	v_fmac_f32_e32 v16, v17, v14
	v_fma_f32 v11, -v11, v16, v15
	v_div_fmas_f32 v11, v11, v14, v16
	v_div_fixup_f32 v9, v11, v4, v9
	v_cvt_f16_f32_e32 v11, v9
.LBB10_97:
	s_or_b64 exec, exec, s[2:3]
	s_and_saveexec_b64 s[2:3], s[0:1]
	s_cbranch_execz .LBB10_99
; %bb.98:
	v_div_scale_f32 v9, s[4:5], v4, v4, v8
	v_rcp_f32_e32 v10, v9
	v_div_scale_f32 v14, vcc, v8, v4, v8
	v_fma_f32 v15, -v9, v10, 1.0
	v_fmac_f32_e32 v10, v15, v10
	v_mul_f32_e32 v15, v14, v10
	v_fma_f32 v16, -v9, v15, v14
	v_fmac_f32_e32 v15, v16, v10
	v_fma_f32 v9, -v9, v15, v14
	v_div_fmas_f32 v9, v9, v10, v15
	v_div_fixup_f32 v8, v9, v4, v8
	v_cvt_f16_f32_e32 v10, v8
.LBB10_99:
	s_or_b64 exec, exec, s[2:3]
	s_mov_b32 s2, 0x5040100
	v_add_u32_e32 v0, 0x380, v0
	v_perm_b32 v9, v10, v11, s2
	v_perm_b32 v8, v12, v13, s2
	v_cmp_gt_u32_e32 vcc, s14, v0
	global_store_dwordx2 v[2:3], v[8:9], off offset:1536
	s_and_b64 exec, exec, vcc
	s_cbranch_execz .LBB10_109
; %bb.100:
	v_mov_b32_e32 v0, 0
	v_mov_b32_e32 v8, 0
	s_and_saveexec_b64 s[2:3], s[0:1]
	s_cbranch_execz .LBB10_102
; %bb.101:
	v_div_scale_f32 v8, s[4:5], v4, v4, v7
	v_rcp_f32_e32 v9, v8
	v_div_scale_f32 v10, vcc, v7, v4, v7
	v_fma_f32 v11, -v8, v9, 1.0
	v_fmac_f32_e32 v9, v11, v9
	v_mul_f32_e32 v11, v10, v9
	v_fma_f32 v12, -v8, v11, v10
	v_fmac_f32_e32 v11, v12, v9
	v_fma_f32 v8, -v8, v11, v10
	v_div_fmas_f32 v8, v8, v9, v11
	v_div_fixup_f32 v7, v8, v4, v7
	v_cvt_f16_f32_e32 v8, v7
.LBB10_102:
	s_or_b64 exec, exec, s[2:3]
	s_and_saveexec_b64 s[2:3], s[0:1]
	s_cbranch_execz .LBB10_104
; %bb.103:
	v_div_scale_f32 v0, s[4:5], v4, v4, v6
	v_rcp_f32_e32 v7, v0
	v_div_scale_f32 v9, vcc, v6, v4, v6
	v_fma_f32 v10, -v0, v7, 1.0
	v_fmac_f32_e32 v7, v10, v7
	v_mul_f32_e32 v10, v9, v7
	v_fma_f32 v11, -v0, v10, v9
	v_fmac_f32_e32 v10, v11, v7
	v_fma_f32 v0, -v0, v10, v9
	v_div_fmas_f32 v0, v0, v7, v10
	v_div_fixup_f32 v0, v0, v4, v6
	v_cvt_f16_f32_e32 v0, v0
.LBB10_104:
	s_or_b64 exec, exec, s[2:3]
	v_mov_b32_e32 v6, 0
	v_mov_b32_e32 v7, 0
	s_and_saveexec_b64 s[2:3], s[0:1]
	s_cbranch_execz .LBB10_106
; %bb.105:
	v_div_scale_f32 v7, s[4:5], v4, v4, v5
	v_rcp_f32_e32 v9, v7
	v_div_scale_f32 v10, vcc, v5, v4, v5
	v_fma_f32 v11, -v7, v9, 1.0
	v_fmac_f32_e32 v9, v11, v9
	v_mul_f32_e32 v11, v10, v9
	v_fma_f32 v12, -v7, v11, v10
	v_fmac_f32_e32 v11, v12, v9
	v_fma_f32 v7, -v7, v11, v10
	v_div_fmas_f32 v7, v7, v9, v11
	v_div_fixup_f32 v5, v7, v4, v5
	v_cvt_f16_f32_e32 v7, v5
.LBB10_106:
	s_or_b64 exec, exec, s[2:3]
	s_and_saveexec_b64 s[2:3], s[0:1]
	s_cbranch_execz .LBB10_108
; %bb.107:
	v_div_scale_f32 v5, s[0:1], v4, v4, v1
	v_rcp_f32_e32 v6, v5
	v_div_scale_f32 v9, vcc, v1, v4, v1
	v_fma_f32 v10, -v5, v6, 1.0
	v_fmac_f32_e32 v6, v10, v6
	v_mul_f32_e32 v10, v9, v6
	v_fma_f32 v11, -v5, v10, v9
	v_fmac_f32_e32 v10, v11, v6
	v_fma_f32 v5, -v5, v10, v9
	v_div_fmas_f32 v5, v5, v6, v10
	v_div_fixup_f32 v1, v5, v4, v1
	v_cvt_f16_f32_e32 v6, v1
.LBB10_108:
	s_or_b64 exec, exec, s[2:3]
	s_mov_b32 s0, 0x5040100
	v_perm_b32 v1, v6, v7, s0
	v_perm_b32 v0, v0, v8, s0
	global_store_dwordx2 v[2:3], v[0:1], off offset:1792
.LBB10_109:
	s_endpgm
	.section	.rodata,"a",@progbits
	.p2align	6, 0x0
	.amdhsa_kernel _Z34scaled_masked_softmax_warp_forwardI6__halfS0_fLi10EEvPT0_PKT_PKhT1_iii
		.amdhsa_group_segment_fixed_size 0
		.amdhsa_private_segment_fixed_size 0
		.amdhsa_kernarg_size 296
		.amdhsa_user_sgpr_count 6
		.amdhsa_user_sgpr_private_segment_buffer 1
		.amdhsa_user_sgpr_dispatch_ptr 0
		.amdhsa_user_sgpr_queue_ptr 0
		.amdhsa_user_sgpr_kernarg_segment_ptr 1
		.amdhsa_user_sgpr_dispatch_id 0
		.amdhsa_user_sgpr_flat_scratch_init 0
		.amdhsa_user_sgpr_kernarg_preload_length 0
		.amdhsa_user_sgpr_kernarg_preload_offset 0
		.amdhsa_user_sgpr_private_segment_size 0
		.amdhsa_uses_dynamic_stack 0
		.amdhsa_system_sgpr_private_segment_wavefront_offset 0
		.amdhsa_system_sgpr_workgroup_id_x 1
		.amdhsa_system_sgpr_workgroup_id_y 1
		.amdhsa_system_sgpr_workgroup_id_z 1
		.amdhsa_system_sgpr_workgroup_info 0
		.amdhsa_system_vgpr_workitem_id 1
		.amdhsa_next_free_vgpr 56
		.amdhsa_next_free_sgpr 20
		.amdhsa_accum_offset 56
		.amdhsa_reserve_vcc 1
		.amdhsa_reserve_flat_scratch 0
		.amdhsa_float_round_mode_32 0
		.amdhsa_float_round_mode_16_64 0
		.amdhsa_float_denorm_mode_32 3
		.amdhsa_float_denorm_mode_16_64 3
		.amdhsa_dx10_clamp 1
		.amdhsa_ieee_mode 1
		.amdhsa_fp16_overflow 0
		.amdhsa_tg_split 0
		.amdhsa_exception_fp_ieee_invalid_op 0
		.amdhsa_exception_fp_denorm_src 0
		.amdhsa_exception_fp_ieee_div_zero 0
		.amdhsa_exception_fp_ieee_overflow 0
		.amdhsa_exception_fp_ieee_underflow 0
		.amdhsa_exception_fp_ieee_inexact 0
		.amdhsa_exception_int_div_zero 0
	.end_amdhsa_kernel
	.section	.text._Z34scaled_masked_softmax_warp_forwardI6__halfS0_fLi10EEvPT0_PKT_PKhT1_iii,"axG",@progbits,_Z34scaled_masked_softmax_warp_forwardI6__halfS0_fLi10EEvPT0_PKT_PKhT1_iii,comdat
.Lfunc_end10:
	.size	_Z34scaled_masked_softmax_warp_forwardI6__halfS0_fLi10EEvPT0_PKT_PKhT1_iii, .Lfunc_end10-_Z34scaled_masked_softmax_warp_forwardI6__halfS0_fLi10EEvPT0_PKT_PKhT1_iii
                                        ; -- End function
	.section	.AMDGPU.csdata,"",@progbits
; Kernel info:
; codeLenInByte = 9424
; NumSgprs: 24
; NumVgprs: 56
; NumAgprs: 0
; TotalNumVgprs: 56
; ScratchSize: 0
; MemoryBound: 0
; FloatMode: 240
; IeeeMode: 1
; LDSByteSize: 0 bytes/workgroup (compile time only)
; SGPRBlocks: 2
; VGPRBlocks: 6
; NumSGPRsForWavesPerEU: 24
; NumVGPRsForWavesPerEU: 56
; AccumOffset: 56
; Occupancy: 8
; WaveLimiterHint : 0
; COMPUTE_PGM_RSRC2:SCRATCH_EN: 0
; COMPUTE_PGM_RSRC2:USER_SGPR: 6
; COMPUTE_PGM_RSRC2:TRAP_HANDLER: 0
; COMPUTE_PGM_RSRC2:TGID_X_EN: 1
; COMPUTE_PGM_RSRC2:TGID_Y_EN: 1
; COMPUTE_PGM_RSRC2:TGID_Z_EN: 1
; COMPUTE_PGM_RSRC2:TIDIG_COMP_CNT: 1
; COMPUTE_PGM_RSRC3_GFX90A:ACCUM_OFFSET: 13
; COMPUTE_PGM_RSRC3_GFX90A:TG_SPLIT: 0
	.section	.text._Z34scaled_masked_softmax_warp_forwardI14__hip_bfloat16S0_fLi0EEvPT0_PKT_PKhT1_iii,"axG",@progbits,_Z34scaled_masked_softmax_warp_forwardI14__hip_bfloat16S0_fLi0EEvPT0_PKT_PKhT1_iii,comdat
	.protected	_Z34scaled_masked_softmax_warp_forwardI14__hip_bfloat16S0_fLi0EEvPT0_PKT_PKhT1_iii ; -- Begin function _Z34scaled_masked_softmax_warp_forwardI14__hip_bfloat16S0_fLi0EEvPT0_PKT_PKhT1_iii
	.globl	_Z34scaled_masked_softmax_warp_forwardI14__hip_bfloat16S0_fLi0EEvPT0_PKT_PKhT1_iii
	.p2align	8
	.type	_Z34scaled_masked_softmax_warp_forwardI14__hip_bfloat16S0_fLi0EEvPT0_PKT_PKhT1_iii,@function
_Z34scaled_masked_softmax_warp_forwardI14__hip_bfloat16S0_fLi0EEvPT0_PKT_PKhT1_iii: ; @_Z34scaled_masked_softmax_warp_forwardI14__hip_bfloat16S0_fLi0EEvPT0_PKT_PKhT1_iii
; %bb.0:
	s_load_dword s0, s[6:7], 0x34
	s_load_dwordx4 s[12:15], s[6:7], 0x18
	s_load_dwordx2 s[2:3], s[6:7], 0x28
	s_mov_b32 s11, s8
	s_waitcnt lgkmcnt(0)
	s_lshr_b32 s20, s0, 16
	s_cmp_eq_u32 s15, 1
	s_cbranch_scc1 .LBB11_2
; %bb.1:
	s_mul_i32 s0, s2, s10
	s_add_i32 s11, s0, s8
.LBB11_2:
	s_load_dwordx2 s[22:23], s[4:5], 0x4
	s_load_dwordx4 s[16:19], s[6:7], 0x0
	s_load_dwordx2 s[0:1], s[6:7], 0x10
	s_mul_i32 s3, s3, s10
	s_add_i32 s3, s3, s9
	s_waitcnt lgkmcnt(0)
	s_lshr_b32 s4, s22, 16
	v_and_b32_e32 v8, 0x3ff, v0
	s_mul_i32 s4, s4, s23
	s_mul_i32 s2, s2, s3
	v_bfe_u32 v1, v0, 10, 10
	v_mul_lo_u32 v2, s4, v8
	s_and_b32 s6, 0xffff, s20
	s_add_i32 s2, s2, s8
	v_mad_u32_u24 v2, v1, s23, v2
	v_bfe_u32 v0, v0, 20, 10
	s_mul_i32 s2, s2, s6
	v_add_lshl_u32 v6, v2, v0, 3
	v_add_u32_e32 v0, s2, v1
	v_lshlrev_b32_e32 v2, 1, v0
	v_sub_u32_e32 v2, s13, v2
	v_min_i32_e32 v3, 2, v2
	v_mul_lo_u32 v0, s14, v0
	v_cmp_lt_i32_e32 vcc, 0, v2
	v_max_i32_e32 v7, 1, v3
	v_lshl_add_u32 v0, v0, 1, v8
                                        ; implicit-def: $vgpr5
	s_and_saveexec_b64 s[4:5], vcc
	s_cbranch_execz .LBB11_10
; %bb.3:
	s_mul_i32 s2, s11, s6
	v_add_u32_e32 v1, s2, v1
	v_mul_lo_u32 v1, s14, v1
	v_lshl_add_u32 v1, v1, 1, v8
	v_ashrrev_i32_e32 v3, 31, v1
	v_mov_b32_e32 v4, s1
	v_add_co_u32_e64 v2, s[0:1], s0, v1
	v_ashrrev_i32_e32 v1, 31, v0
	v_addc_co_u32_e64 v3, s[0:1], v4, v3, s[0:1]
	v_lshlrev_b64 v[4:5], 1, v[0:1]
	s_ashr_i32 s15, s14, 31
	v_mov_b32_e32 v1, s19
	v_add_co_u32_e64 v4, s[2:3], s18, v4
	s_lshl_b64 s[8:9], s[14:15], 1
	v_cmp_gt_i32_e64 s[0:1], s14, v8
	v_addc_co_u32_e64 v5, s[2:3], v1, v5, s[2:3]
	s_mov_b64 s[6:7], 0
	v_mov_b32_e32 v1, s9
	v_mov_b32_e32 v9, s15
	;; [unrolled: 1-line block ×4, first 2 shown]
	s_branch .LBB11_6
.LBB11_4:                               ;   in Loop: Header=BB11_6 Depth=1
	s_or_b64 exec, exec, s[18:19]
.LBB11_5:                               ;   in Loop: Header=BB11_6 Depth=1
	s_or_b64 exec, exec, s[10:11]
	v_add_co_u32_e64 v4, s[2:3], s8, v4
	v_add_u32_e32 v10, -1, v10
	v_addc_co_u32_e64 v5, s[2:3], v5, v1, s[2:3]
	v_cmp_eq_u32_e64 s[2:3], 0, v10
	s_or_b64 s[6:7], s[2:3], s[6:7]
	v_add_co_u32_e64 v2, s[2:3], s14, v2
	ds_write_b32 v11, v12
	v_add_u32_e32 v11, 4, v11
	v_addc_co_u32_e64 v3, s[2:3], v3, v9, s[2:3]
	s_andn2_b64 exec, exec, s[6:7]
	s_cbranch_execz .LBB11_9
.LBB11_6:                               ; =>This Inner Loop Header: Depth=1
	v_mov_b32_e32 v12, 0xff800000
	s_and_saveexec_b64 s[10:11], s[0:1]
	s_cbranch_execz .LBB11_5
; %bb.7:                                ;   in Loop: Header=BB11_6 Depth=1
	global_load_ubyte v12, v[2:3], off
	s_waitcnt vmcnt(0)
	v_cmp_ne_u16_e64 s[2:3], 1, v12
	v_mov_b32_e32 v12, 0xc61c4000
	s_and_saveexec_b64 s[18:19], s[2:3]
	s_cbranch_execz .LBB11_4
; %bb.8:                                ;   in Loop: Header=BB11_6 Depth=1
	global_load_ushort v12, v[4:5], off
	s_waitcnt vmcnt(0)
	v_lshlrev_b32_e32 v12, 16, v12
	v_mul_f32_e32 v12, s12, v12
	s_branch .LBB11_4
.LBB11_9:
	s_or_b64 exec, exec, s[6:7]
	ds_read2_b32 v[4:5], v6 offset1:1
.LBB11_10:
	s_or_b64 exec, exec, s[4:5]
	s_waitcnt lgkmcnt(0)
	v_pk_add_f32 v[2:3], v[4:5], v[4:5] neg_lo:[0,1] neg_hi:[0,1]
	s_mov_b32 s2, 0x3fb8aa3b
	v_mul_f32_e32 v1, 0x3fb8aa3b, v3
	v_fma_f32 v9, v3, s2, -v1
	v_rndne_f32_e32 v10, v1
	v_fmac_f32_e32 v9, 0x32a5705f, v3
	v_sub_f32_e32 v1, v1, v10
	v_add_f32_e32 v1, v1, v9
	v_exp_f32_e32 v1, v1
	v_cvt_i32_f32_e32 v9, v10
	s_mov_b32 s3, 0xc2ce8ed0
	v_cmp_ngt_f32_e64 s[0:1], s3, v3
	s_mov_b32 s4, 0x42b17218
	v_ldexp_f32 v1, v1, v9
	v_mul_f32_e32 v9, 0x3fb8aa3b, v2
	v_fma_f32 v10, v2, s2, -v9
	v_rndne_f32_e32 v11, v9
	v_fmac_f32_e32 v10, 0x32a5705f, v2
	v_sub_f32_e32 v9, v9, v11
	v_add_f32_e32 v9, v9, v10
	v_exp_f32_e32 v9, v9
	v_cvt_i32_f32_e32 v10, v11
	v_cndmask_b32_e64 v1, 0, v1, s[0:1]
	v_mov_b32_e32 v11, 0x7f800000
	v_cmp_nlt_f32_e64 s[0:1], s4, v3
	v_cndmask_b32_e64 v3, v11, v1, s[0:1]
	v_ldexp_f32 v1, v9, v10
	v_cmp_ngt_f32_e64 s[0:1], s3, v2
	v_cndmask_b32_e64 v1, 0, v1, s[0:1]
	v_cmp_nlt_f32_e64 s[0:1], s4, v2
	s_mov_b32 s18, 0x7f800000
	v_cndmask_b32_e64 v2, v11, v1, s[0:1]
	ds_write2_b32 v6, v2, v3 offset1:1
	s_and_saveexec_b64 s[0:1], vcc
	s_cbranch_execz .LBB11_21
; %bb.11:
	s_mov_b32 s0, 0xc61c4000
	v_cmp_eq_f32_e32 vcc, s0, v4
	v_ashrrev_i32_e32 v1, 31, v0
	v_cndmask_b32_e64 v4, 1.0, 0, vcc
	v_cmp_eq_f32_e32 vcc, s0, v5
	v_lshlrev_b64 v[0:1], 1, v[0:1]
	s_ashr_i32 s15, s14, 31
	v_cndmask_b32_e64 v5, 1.0, 0, vcc
	v_cmp_gt_i32_e64 s[0:1], s14, v8
	v_mov_b32_e32 v8, s17
	v_add_co_u32_e32 v0, vcc, s16, v0
	s_lshl_b64 s[2:3], s[14:15], 1
	v_addc_co_u32_e32 v1, vcc, v8, v1, vcc
	s_mov_b64 s[4:5], 0
	s_movk_i32 s14, 0x7fff
	v_mov_b32_e32 v8, s3
	v_mov_b32_e32 v9, 0
	s_mov_b64 s[6:7], 0
	s_branch .LBB11_15
.LBB11_12:                              ;   in Loop: Header=BB11_15 Depth=1
	s_or_b64 exec, exec, s[12:13]
	v_lshrrev_b32_e32 v10, 16, v11
.LBB11_13:                              ;   in Loop: Header=BB11_15 Depth=1
	s_or_b64 exec, exec, s[10:11]
	global_store_short v[0:1], v10, off
.LBB11_14:                              ;   in Loop: Header=BB11_15 Depth=1
	s_or_b64 exec, exec, s[8:9]
	v_add_co_u32_e32 v0, vcc, s2, v0
	s_add_u32 s6, s6, 1
	v_addc_co_u32_e32 v1, vcc, v1, v8, vcc
	s_addc_u32 s7, s7, 0
	v_cmp_eq_u32_e32 vcc, s6, v7
	s_or_b64 s[4:5], vcc, s[4:5]
	v_add_u32_e32 v6, 4, v6
	s_andn2_b64 exec, exec, s[4:5]
	s_cbranch_execz .LBB11_21
.LBB11_15:                              ; =>This Inner Loop Header: Depth=1
	s_and_saveexec_b64 s[8:9], s[0:1]
	s_cbranch_execz .LBB11_14
; %bb.16:                               ;   in Loop: Header=BB11_15 Depth=1
	s_cmp_eq_u32 s6, 1
	s_cselect_b64 vcc, -1, 0
	v_cndmask_b32_e32 v10, v4, v5, vcc
	v_cmp_neq_f32_e32 vcc, 0, v10
	v_mov_b32_e32 v10, 0
	s_and_saveexec_b64 s[10:11], vcc
	s_cbranch_execz .LBB11_13
; %bb.17:                               ;   in Loop: Header=BB11_15 Depth=1
	ds_read_b32 v10, v6
	s_cmp_eq_u32 s6, 1
	s_cselect_b64 vcc, -1, 0
	v_cndmask_b32_e32 v11, v2, v3, vcc
	s_waitcnt lgkmcnt(0)
	v_div_scale_f32 v12, s[12:13], v11, v11, v10
	v_rcp_f32_e32 v13, v12
	v_div_scale_f32 v14, vcc, v10, v11, v10
	v_fma_f32 v15, -v12, v13, 1.0
	v_fmac_f32_e32 v13, v15, v13
	v_mul_f32_e32 v15, v14, v13
	v_fma_f32 v16, -v12, v15, v14
	v_fmac_f32_e32 v15, v16, v13
	v_fma_f32 v12, -v12, v15, v14
	v_div_fmas_f32 v12, v12, v13, v15
	v_div_fixup_f32 v10, v12, v11, v10
	v_and_b32_e32 v11, 0x7f800000, v10
	v_cmp_ne_u32_e32 vcc, s18, v11
                                        ; implicit-def: $vgpr11
	s_and_saveexec_b64 s[12:13], vcc
	s_xor_b64 s[12:13], exec, s[12:13]
; %bb.18:                               ;   in Loop: Header=BB11_15 Depth=1
	v_bfe_u32 v11, v10, 16, 1
	v_add3_u32 v11, v10, v11, s14
                                        ; implicit-def: $vgpr10
; %bb.19:                               ;   in Loop: Header=BB11_15 Depth=1
	s_andn2_saveexec_b64 s[12:13], s[12:13]
	s_cbranch_execz .LBB11_12
; %bb.20:                               ;   in Loop: Header=BB11_15 Depth=1
	v_or_b32_e32 v11, 0x10000, v10
	v_cmp_eq_u32_sdwa vcc, v10, v9 src0_sel:WORD_0 src1_sel:DWORD
	v_cndmask_b32_e32 v11, v11, v10, vcc
	s_branch .LBB11_12
.LBB11_21:
	s_endpgm
	.section	.rodata,"a",@progbits
	.p2align	6, 0x0
	.amdhsa_kernel _Z34scaled_masked_softmax_warp_forwardI14__hip_bfloat16S0_fLi0EEvPT0_PKT_PKhT1_iii
		.amdhsa_group_segment_fixed_size 8192
		.amdhsa_private_segment_fixed_size 0
		.amdhsa_kernarg_size 296
		.amdhsa_user_sgpr_count 8
		.amdhsa_user_sgpr_private_segment_buffer 1
		.amdhsa_user_sgpr_dispatch_ptr 1
		.amdhsa_user_sgpr_queue_ptr 0
		.amdhsa_user_sgpr_kernarg_segment_ptr 1
		.amdhsa_user_sgpr_dispatch_id 0
		.amdhsa_user_sgpr_flat_scratch_init 0
		.amdhsa_user_sgpr_kernarg_preload_length 0
		.amdhsa_user_sgpr_kernarg_preload_offset 0
		.amdhsa_user_sgpr_private_segment_size 0
		.amdhsa_uses_dynamic_stack 0
		.amdhsa_system_sgpr_private_segment_wavefront_offset 0
		.amdhsa_system_sgpr_workgroup_id_x 1
		.amdhsa_system_sgpr_workgroup_id_y 1
		.amdhsa_system_sgpr_workgroup_id_z 1
		.amdhsa_system_sgpr_workgroup_info 0
		.amdhsa_system_vgpr_workitem_id 2
		.amdhsa_next_free_vgpr 17
		.amdhsa_next_free_sgpr 24
		.amdhsa_accum_offset 20
		.amdhsa_reserve_vcc 1
		.amdhsa_reserve_flat_scratch 0
		.amdhsa_float_round_mode_32 0
		.amdhsa_float_round_mode_16_64 0
		.amdhsa_float_denorm_mode_32 3
		.amdhsa_float_denorm_mode_16_64 3
		.amdhsa_dx10_clamp 1
		.amdhsa_ieee_mode 1
		.amdhsa_fp16_overflow 0
		.amdhsa_tg_split 0
		.amdhsa_exception_fp_ieee_invalid_op 0
		.amdhsa_exception_fp_denorm_src 0
		.amdhsa_exception_fp_ieee_div_zero 0
		.amdhsa_exception_fp_ieee_overflow 0
		.amdhsa_exception_fp_ieee_underflow 0
		.amdhsa_exception_fp_ieee_inexact 0
		.amdhsa_exception_int_div_zero 0
	.end_amdhsa_kernel
	.section	.text._Z34scaled_masked_softmax_warp_forwardI14__hip_bfloat16S0_fLi0EEvPT0_PKT_PKhT1_iii,"axG",@progbits,_Z34scaled_masked_softmax_warp_forwardI14__hip_bfloat16S0_fLi0EEvPT0_PKT_PKhT1_iii,comdat
.Lfunc_end11:
	.size	_Z34scaled_masked_softmax_warp_forwardI14__hip_bfloat16S0_fLi0EEvPT0_PKT_PKhT1_iii, .Lfunc_end11-_Z34scaled_masked_softmax_warp_forwardI14__hip_bfloat16S0_fLi0EEvPT0_PKT_PKhT1_iii
                                        ; -- End function
	.section	.AMDGPU.csdata,"",@progbits
; Kernel info:
; codeLenInByte = 1096
; NumSgprs: 28
; NumVgprs: 17
; NumAgprs: 0
; TotalNumVgprs: 17
; ScratchSize: 0
; MemoryBound: 0
; FloatMode: 240
; IeeeMode: 1
; LDSByteSize: 8192 bytes/workgroup (compile time only)
; SGPRBlocks: 3
; VGPRBlocks: 2
; NumSGPRsForWavesPerEU: 28
; NumVGPRsForWavesPerEU: 17
; AccumOffset: 20
; Occupancy: 8
; WaveLimiterHint : 0
; COMPUTE_PGM_RSRC2:SCRATCH_EN: 0
; COMPUTE_PGM_RSRC2:USER_SGPR: 8
; COMPUTE_PGM_RSRC2:TRAP_HANDLER: 0
; COMPUTE_PGM_RSRC2:TGID_X_EN: 1
; COMPUTE_PGM_RSRC2:TGID_Y_EN: 1
; COMPUTE_PGM_RSRC2:TGID_Z_EN: 1
; COMPUTE_PGM_RSRC2:TIDIG_COMP_CNT: 2
; COMPUTE_PGM_RSRC3_GFX90A:ACCUM_OFFSET: 4
; COMPUTE_PGM_RSRC3_GFX90A:TG_SPLIT: 0
	.section	.text._Z34scaled_masked_softmax_warp_forwardI14__hip_bfloat16S0_fLi1EEvPT0_PKT_PKhT1_iii,"axG",@progbits,_Z34scaled_masked_softmax_warp_forwardI14__hip_bfloat16S0_fLi1EEvPT0_PKT_PKhT1_iii,comdat
	.protected	_Z34scaled_masked_softmax_warp_forwardI14__hip_bfloat16S0_fLi1EEvPT0_PKT_PKhT1_iii ; -- Begin function _Z34scaled_masked_softmax_warp_forwardI14__hip_bfloat16S0_fLi1EEvPT0_PKT_PKhT1_iii
	.globl	_Z34scaled_masked_softmax_warp_forwardI14__hip_bfloat16S0_fLi1EEvPT0_PKT_PKhT1_iii
	.p2align	8
	.type	_Z34scaled_masked_softmax_warp_forwardI14__hip_bfloat16S0_fLi1EEvPT0_PKT_PKhT1_iii,@function
_Z34scaled_masked_softmax_warp_forwardI14__hip_bfloat16S0_fLi1EEvPT0_PKT_PKhT1_iii: ; @_Z34scaled_masked_softmax_warp_forwardI14__hip_bfloat16S0_fLi1EEvPT0_PKT_PKhT1_iii
; %bb.0:
	s_load_dword s0, s[6:7], 0x34
	s_load_dwordx4 s[12:15], s[6:7], 0x18
	s_load_dwordx2 s[2:3], s[6:7], 0x28
	s_mov_b32 s11, s8
	s_waitcnt lgkmcnt(0)
	s_lshr_b32 s20, s0, 16
	s_cmp_eq_u32 s15, 1
	s_cbranch_scc1 .LBB12_2
; %bb.1:
	s_mul_i32 s0, s2, s10
	s_add_i32 s11, s0, s8
.LBB12_2:
	s_load_dwordx2 s[22:23], s[4:5], 0x4
	s_load_dwordx4 s[16:19], s[6:7], 0x0
	s_load_dwordx2 s[0:1], s[6:7], 0x10
	s_mul_i32 s3, s3, s10
	s_add_i32 s3, s3, s9
	s_waitcnt lgkmcnt(0)
	s_lshr_b32 s4, s22, 16
	v_and_b32_e32 v10, 0x3ff, v0
	s_mul_i32 s4, s4, s23
	s_mul_i32 s2, s2, s3
	v_bfe_u32 v1, v0, 10, 10
	v_mul_lo_u32 v2, s4, v10
	s_and_b32 s6, 0xffff, s20
	s_add_i32 s2, s2, s8
	v_mad_u32_u24 v2, v1, s23, v2
	v_bfe_u32 v0, v0, 20, 10
	s_mul_i32 s2, s2, s6
	v_add_lshl_u32 v8, v2, v0, 3
	v_add_u32_e32 v0, s2, v1
	v_lshlrev_b32_e32 v2, 1, v0
	v_sub_u32_e32 v2, s13, v2
	v_min_i32_e32 v3, 2, v2
	v_mul_lo_u32 v0, s14, v0
	v_cmp_lt_i32_e32 vcc, 0, v2
	v_max_i32_e32 v9, 1, v3
	v_lshl_add_u32 v0, v0, 1, v10
                                        ; implicit-def: $vgpr5
	s_and_saveexec_b64 s[4:5], vcc
	s_cbranch_execz .LBB12_10
; %bb.3:
	s_mul_i32 s2, s11, s6
	v_add_u32_e32 v1, s2, v1
	v_mul_lo_u32 v1, s14, v1
	v_lshl_add_u32 v1, v1, 1, v10
	v_ashrrev_i32_e32 v3, 31, v1
	v_mov_b32_e32 v4, s1
	v_add_co_u32_e64 v2, s[0:1], s0, v1
	v_ashrrev_i32_e32 v1, 31, v0
	v_addc_co_u32_e64 v3, s[0:1], v4, v3, s[0:1]
	v_lshlrev_b64 v[4:5], 1, v[0:1]
	s_ashr_i32 s15, s14, 31
	v_mov_b32_e32 v1, s19
	v_add_co_u32_e64 v4, s[2:3], s18, v4
	s_lshl_b64 s[8:9], s[14:15], 1
	v_cmp_gt_i32_e64 s[0:1], s14, v10
	v_addc_co_u32_e64 v5, s[2:3], v1, v5, s[2:3]
	s_mov_b64 s[6:7], 0
	v_mov_b32_e32 v1, s9
	v_mov_b32_e32 v6, s15
	;; [unrolled: 1-line block ×4, first 2 shown]
	s_branch .LBB12_6
.LBB12_4:                               ;   in Loop: Header=BB12_6 Depth=1
	s_or_b64 exec, exec, s[18:19]
.LBB12_5:                               ;   in Loop: Header=BB12_6 Depth=1
	s_or_b64 exec, exec, s[10:11]
	v_add_co_u32_e64 v4, s[2:3], s8, v4
	v_add_u32_e32 v7, -1, v7
	v_addc_co_u32_e64 v5, s[2:3], v5, v1, s[2:3]
	v_cmp_eq_u32_e64 s[2:3], 0, v7
	s_or_b64 s[6:7], s[2:3], s[6:7]
	v_add_co_u32_e64 v2, s[2:3], s14, v2
	ds_write_b32 v11, v12
	v_add_u32_e32 v11, 4, v11
	v_addc_co_u32_e64 v3, s[2:3], v3, v6, s[2:3]
	s_andn2_b64 exec, exec, s[6:7]
	s_cbranch_execz .LBB12_9
.LBB12_6:                               ; =>This Inner Loop Header: Depth=1
	v_mov_b32_e32 v12, 0xff800000
	s_and_saveexec_b64 s[10:11], s[0:1]
	s_cbranch_execz .LBB12_5
; %bb.7:                                ;   in Loop: Header=BB12_6 Depth=1
	global_load_ubyte v12, v[2:3], off
	s_waitcnt vmcnt(0)
	v_cmp_ne_u16_e64 s[2:3], 1, v12
	v_mov_b32_e32 v12, 0xc61c4000
	s_and_saveexec_b64 s[18:19], s[2:3]
	s_cbranch_execz .LBB12_4
; %bb.8:                                ;   in Loop: Header=BB12_6 Depth=1
	global_load_ushort v12, v[4:5], off
	s_waitcnt vmcnt(0)
	v_lshlrev_b32_e32 v12, 16, v12
	v_mul_f32_e32 v12, s12, v12
	s_branch .LBB12_4
.LBB12_9:
	s_or_b64 exec, exec, s[6:7]
	ds_read2_b32 v[4:5], v8 offset1:1
.LBB12_10:
	s_or_b64 exec, exec, s[4:5]
	v_mbcnt_lo_u32_b32 v1, -1, 0
	v_mbcnt_hi_u32_b32 v1, -1, v1
	v_and_b32_e32 v3, 0x7e, v1
	v_xor_b32_e32 v2, 1, v1
	v_add_u32_e32 v3, 2, v3
	v_cmp_lt_i32_e64 s[0:1], v2, v3
	v_cndmask_b32_e64 v1, v1, v2, s[0:1]
	v_lshlrev_b32_e32 v1, 2, v1
	s_waitcnt lgkmcnt(0)
	ds_bpermute_b32 v2, v1, v5
	ds_bpermute_b32 v6, v1, v4
	s_mov_b32 s2, 0x3fb8aa3b
	s_mov_b32 s3, 0xc2ce8ed0
	;; [unrolled: 1-line block ×3, first 2 shown]
	s_waitcnt lgkmcnt(1)
	v_cmp_lt_f32_e64 s[0:1], v5, v2
	v_cndmask_b32_e64 v3, v5, v2, s[0:1]
	s_waitcnt lgkmcnt(0)
	v_cmp_lt_f32_e64 s[0:1], v4, v6
	v_cndmask_b32_e64 v2, v4, v6, s[0:1]
	v_pk_add_f32 v[4:5], v[4:5], v[2:3] neg_lo:[0,1] neg_hi:[0,1]
	v_mul_f32_e32 v6, 0x3fb8aa3b, v5
	v_fma_f32 v7, v5, s2, -v6
	v_rndne_f32_e32 v11, v6
	v_fmac_f32_e32 v7, 0x32a5705f, v5
	v_sub_f32_e32 v6, v6, v11
	v_add_f32_e32 v6, v6, v7
	v_exp_f32_e32 v6, v6
	v_cvt_i32_f32_e32 v7, v11
	v_cmp_ngt_f32_e64 s[0:1], s3, v5
	s_mov_b32 s18, 0x7f800000
	v_ldexp_f32 v6, v6, v7
	v_mul_f32_e32 v7, 0x3fb8aa3b, v4
	v_fma_f32 v11, v4, s2, -v7
	v_rndne_f32_e32 v12, v7
	v_fmac_f32_e32 v11, 0x32a5705f, v4
	v_sub_f32_e32 v7, v7, v12
	v_add_f32_e32 v7, v7, v11
	v_exp_f32_e32 v7, v7
	v_cvt_i32_f32_e32 v11, v12
	v_cndmask_b32_e64 v6, 0, v6, s[0:1]
	v_mov_b32_e32 v12, 0x7f800000
	v_cmp_nlt_f32_e64 s[0:1], s4, v5
	v_cndmask_b32_e64 v5, v12, v6, s[0:1]
	v_ldexp_f32 v6, v7, v11
	v_cmp_ngt_f32_e64 s[0:1], s3, v4
	v_cndmask_b32_e64 v6, 0, v6, s[0:1]
	v_cmp_nlt_f32_e64 s[0:1], s4, v4
	v_cndmask_b32_e64 v4, v12, v6, s[0:1]
	ds_bpermute_b32 v6, v1, v4
	ds_bpermute_b32 v7, v1, v5
	ds_write2_b32 v8, v4, v5 offset1:1
	s_and_saveexec_b64 s[0:1], vcc
	s_cbranch_execz .LBB12_21
; %bb.11:
	s_mov_b32 s0, 0xc61c4000
	v_cmp_eq_f32_e32 vcc, s0, v2
	v_ashrrev_i32_e32 v1, 31, v0
	v_cndmask_b32_e64 v2, 1.0, 0, vcc
	v_cmp_eq_f32_e32 vcc, s0, v3
	v_lshlrev_b64 v[0:1], 1, v[0:1]
	s_ashr_i32 s15, s14, 31
	v_cndmask_b32_e64 v3, 1.0, 0, vcc
	s_waitcnt lgkmcnt(1)
	v_pk_add_f32 v[4:5], v[4:5], v[6:7]
	v_mov_b32_e32 v6, s17
	v_add_co_u32_e32 v0, vcc, s16, v0
	s_lshl_b64 s[2:3], s[14:15], 1
	v_cmp_gt_i32_e64 s[0:1], s14, v10
	v_addc_co_u32_e32 v1, vcc, v6, v1, vcc
	s_mov_b64 s[4:5], 0
	s_movk_i32 s14, 0x7fff
	v_mov_b32_e32 v6, s3
	v_mov_b32_e32 v7, 0
	s_mov_b64 s[6:7], 0
	s_branch .LBB12_15
.LBB12_12:                              ;   in Loop: Header=BB12_15 Depth=1
	s_or_b64 exec, exec, s[12:13]
	v_lshrrev_b32_e32 v10, 16, v11
.LBB12_13:                              ;   in Loop: Header=BB12_15 Depth=1
	s_or_b64 exec, exec, s[10:11]
	global_store_short v[0:1], v10, off
.LBB12_14:                              ;   in Loop: Header=BB12_15 Depth=1
	s_or_b64 exec, exec, s[8:9]
	v_add_co_u32_e32 v0, vcc, s2, v0
	s_add_u32 s6, s6, 1
	v_addc_co_u32_e32 v1, vcc, v1, v6, vcc
	s_addc_u32 s7, s7, 0
	v_cmp_eq_u32_e32 vcc, s6, v9
	s_or_b64 s[4:5], vcc, s[4:5]
	v_add_u32_e32 v8, 4, v8
	s_andn2_b64 exec, exec, s[4:5]
	s_cbranch_execz .LBB12_21
.LBB12_15:                              ; =>This Inner Loop Header: Depth=1
	s_and_saveexec_b64 s[8:9], s[0:1]
	s_cbranch_execz .LBB12_14
; %bb.16:                               ;   in Loop: Header=BB12_15 Depth=1
	s_cmp_eq_u32 s6, 1
	s_cselect_b64 vcc, -1, 0
	v_cndmask_b32_e32 v10, v2, v3, vcc
	v_cmp_neq_f32_e32 vcc, 0, v10
	v_mov_b32_e32 v10, 0
	s_and_saveexec_b64 s[10:11], vcc
	s_cbranch_execz .LBB12_13
; %bb.17:                               ;   in Loop: Header=BB12_15 Depth=1
	ds_read_b32 v10, v8
	s_cmp_eq_u32 s6, 1
	s_cselect_b64 vcc, -1, 0
	v_cndmask_b32_e32 v11, v4, v5, vcc
	s_waitcnt lgkmcnt(0)
	v_div_scale_f32 v12, s[12:13], v11, v11, v10
	v_rcp_f32_e32 v13, v12
	v_div_scale_f32 v14, vcc, v10, v11, v10
	v_fma_f32 v15, -v12, v13, 1.0
	v_fmac_f32_e32 v13, v15, v13
	v_mul_f32_e32 v15, v14, v13
	v_fma_f32 v16, -v12, v15, v14
	v_fmac_f32_e32 v15, v16, v13
	v_fma_f32 v12, -v12, v15, v14
	v_div_fmas_f32 v12, v12, v13, v15
	v_div_fixup_f32 v10, v12, v11, v10
	v_and_b32_e32 v11, 0x7f800000, v10
	v_cmp_ne_u32_e32 vcc, s18, v11
                                        ; implicit-def: $vgpr11
	s_and_saveexec_b64 s[12:13], vcc
	s_xor_b64 s[12:13], exec, s[12:13]
; %bb.18:                               ;   in Loop: Header=BB12_15 Depth=1
	v_bfe_u32 v11, v10, 16, 1
	v_add3_u32 v11, v10, v11, s14
                                        ; implicit-def: $vgpr10
; %bb.19:                               ;   in Loop: Header=BB12_15 Depth=1
	s_andn2_saveexec_b64 s[12:13], s[12:13]
	s_cbranch_execz .LBB12_12
; %bb.20:                               ;   in Loop: Header=BB12_15 Depth=1
	v_or_b32_e32 v11, 0x10000, v10
	v_cmp_eq_u32_sdwa vcc, v10, v7 src0_sel:WORD_0 src1_sel:DWORD
	v_cndmask_b32_e32 v11, v11, v10, vcc
	s_branch .LBB12_12
.LBB12_21:
	s_endpgm
	.section	.rodata,"a",@progbits
	.p2align	6, 0x0
	.amdhsa_kernel _Z34scaled_masked_softmax_warp_forwardI14__hip_bfloat16S0_fLi1EEvPT0_PKT_PKhT1_iii
		.amdhsa_group_segment_fixed_size 8192
		.amdhsa_private_segment_fixed_size 0
		.amdhsa_kernarg_size 296
		.amdhsa_user_sgpr_count 8
		.amdhsa_user_sgpr_private_segment_buffer 1
		.amdhsa_user_sgpr_dispatch_ptr 1
		.amdhsa_user_sgpr_queue_ptr 0
		.amdhsa_user_sgpr_kernarg_segment_ptr 1
		.amdhsa_user_sgpr_dispatch_id 0
		.amdhsa_user_sgpr_flat_scratch_init 0
		.amdhsa_user_sgpr_kernarg_preload_length 0
		.amdhsa_user_sgpr_kernarg_preload_offset 0
		.amdhsa_user_sgpr_private_segment_size 0
		.amdhsa_uses_dynamic_stack 0
		.amdhsa_system_sgpr_private_segment_wavefront_offset 0
		.amdhsa_system_sgpr_workgroup_id_x 1
		.amdhsa_system_sgpr_workgroup_id_y 1
		.amdhsa_system_sgpr_workgroup_id_z 1
		.amdhsa_system_sgpr_workgroup_info 0
		.amdhsa_system_vgpr_workitem_id 2
		.amdhsa_next_free_vgpr 17
		.amdhsa_next_free_sgpr 24
		.amdhsa_accum_offset 20
		.amdhsa_reserve_vcc 1
		.amdhsa_reserve_flat_scratch 0
		.amdhsa_float_round_mode_32 0
		.amdhsa_float_round_mode_16_64 0
		.amdhsa_float_denorm_mode_32 3
		.amdhsa_float_denorm_mode_16_64 3
		.amdhsa_dx10_clamp 1
		.amdhsa_ieee_mode 1
		.amdhsa_fp16_overflow 0
		.amdhsa_tg_split 0
		.amdhsa_exception_fp_ieee_invalid_op 0
		.amdhsa_exception_fp_denorm_src 0
		.amdhsa_exception_fp_ieee_div_zero 0
		.amdhsa_exception_fp_ieee_overflow 0
		.amdhsa_exception_fp_ieee_underflow 0
		.amdhsa_exception_fp_ieee_inexact 0
		.amdhsa_exception_int_div_zero 0
	.end_amdhsa_kernel
	.section	.text._Z34scaled_masked_softmax_warp_forwardI14__hip_bfloat16S0_fLi1EEvPT0_PKT_PKhT1_iii,"axG",@progbits,_Z34scaled_masked_softmax_warp_forwardI14__hip_bfloat16S0_fLi1EEvPT0_PKT_PKhT1_iii,comdat
.Lfunc_end12:
	.size	_Z34scaled_masked_softmax_warp_forwardI14__hip_bfloat16S0_fLi1EEvPT0_PKT_PKhT1_iii, .Lfunc_end12-_Z34scaled_masked_softmax_warp_forwardI14__hip_bfloat16S0_fLi1EEvPT0_PKT_PKhT1_iii
                                        ; -- End function
	.section	.AMDGPU.csdata,"",@progbits
; Kernel info:
; codeLenInByte = 1232
; NumSgprs: 28
; NumVgprs: 17
; NumAgprs: 0
; TotalNumVgprs: 17
; ScratchSize: 0
; MemoryBound: 0
; FloatMode: 240
; IeeeMode: 1
; LDSByteSize: 8192 bytes/workgroup (compile time only)
; SGPRBlocks: 3
; VGPRBlocks: 2
; NumSGPRsForWavesPerEU: 28
; NumVGPRsForWavesPerEU: 17
; AccumOffset: 20
; Occupancy: 8
; WaveLimiterHint : 0
; COMPUTE_PGM_RSRC2:SCRATCH_EN: 0
; COMPUTE_PGM_RSRC2:USER_SGPR: 8
; COMPUTE_PGM_RSRC2:TRAP_HANDLER: 0
; COMPUTE_PGM_RSRC2:TGID_X_EN: 1
; COMPUTE_PGM_RSRC2:TGID_Y_EN: 1
; COMPUTE_PGM_RSRC2:TGID_Z_EN: 1
; COMPUTE_PGM_RSRC2:TIDIG_COMP_CNT: 2
; COMPUTE_PGM_RSRC3_GFX90A:ACCUM_OFFSET: 4
; COMPUTE_PGM_RSRC3_GFX90A:TG_SPLIT: 0
	.section	.text._Z34scaled_masked_softmax_warp_forwardI14__hip_bfloat16S0_fLi2EEvPT0_PKT_PKhT1_iii,"axG",@progbits,_Z34scaled_masked_softmax_warp_forwardI14__hip_bfloat16S0_fLi2EEvPT0_PKT_PKhT1_iii,comdat
	.protected	_Z34scaled_masked_softmax_warp_forwardI14__hip_bfloat16S0_fLi2EEvPT0_PKT_PKhT1_iii ; -- Begin function _Z34scaled_masked_softmax_warp_forwardI14__hip_bfloat16S0_fLi2EEvPT0_PKT_PKhT1_iii
	.globl	_Z34scaled_masked_softmax_warp_forwardI14__hip_bfloat16S0_fLi2EEvPT0_PKT_PKhT1_iii
	.p2align	8
	.type	_Z34scaled_masked_softmax_warp_forwardI14__hip_bfloat16S0_fLi2EEvPT0_PKT_PKhT1_iii,@function
_Z34scaled_masked_softmax_warp_forwardI14__hip_bfloat16S0_fLi2EEvPT0_PKT_PKhT1_iii: ; @_Z34scaled_masked_softmax_warp_forwardI14__hip_bfloat16S0_fLi2EEvPT0_PKT_PKhT1_iii
; %bb.0:
	s_load_dword s0, s[6:7], 0x34
	s_load_dwordx4 s[12:15], s[6:7], 0x18
	s_load_dwordx2 s[2:3], s[6:7], 0x28
	s_mov_b32 s11, s8
	s_waitcnt lgkmcnt(0)
	s_lshr_b32 s20, s0, 16
	s_cmp_eq_u32 s15, 1
	s_cbranch_scc1 .LBB13_2
; %bb.1:
	s_mul_i32 s0, s2, s10
	s_add_i32 s11, s0, s8
.LBB13_2:
	s_load_dwordx2 s[22:23], s[4:5], 0x4
	s_load_dwordx4 s[16:19], s[6:7], 0x0
	s_load_dwordx2 s[0:1], s[6:7], 0x10
	s_mul_i32 s3, s3, s10
	s_add_i32 s3, s3, s9
	s_waitcnt lgkmcnt(0)
	s_lshr_b32 s4, s22, 16
	v_and_b32_e32 v10, 0x3ff, v0
	s_mul_i32 s4, s4, s23
	s_mul_i32 s2, s2, s3
	v_bfe_u32 v1, v0, 10, 10
	v_mul_lo_u32 v2, s4, v10
	s_and_b32 s6, 0xffff, s20
	s_add_i32 s2, s2, s8
	v_mad_u32_u24 v2, v1, s23, v2
	v_bfe_u32 v0, v0, 20, 10
	s_mul_i32 s2, s2, s6
	v_add_lshl_u32 v8, v2, v0, 3
	v_add_u32_e32 v0, s2, v1
	v_lshlrev_b32_e32 v2, 1, v0
	v_sub_u32_e32 v2, s13, v2
	v_min_i32_e32 v3, 2, v2
	v_mul_lo_u32 v0, s14, v0
	v_cmp_lt_i32_e32 vcc, 0, v2
	v_max_i32_e32 v9, 1, v3
	v_lshl_add_u32 v0, v0, 1, v10
                                        ; implicit-def: $vgpr5
	s_and_saveexec_b64 s[4:5], vcc
	s_cbranch_execz .LBB13_10
; %bb.3:
	s_mul_i32 s2, s11, s6
	v_add_u32_e32 v1, s2, v1
	v_mul_lo_u32 v1, s14, v1
	v_lshl_add_u32 v1, v1, 1, v10
	v_ashrrev_i32_e32 v3, 31, v1
	v_mov_b32_e32 v4, s1
	v_add_co_u32_e64 v2, s[0:1], s0, v1
	v_ashrrev_i32_e32 v1, 31, v0
	v_addc_co_u32_e64 v3, s[0:1], v4, v3, s[0:1]
	v_lshlrev_b64 v[4:5], 1, v[0:1]
	s_ashr_i32 s15, s14, 31
	v_mov_b32_e32 v1, s19
	v_add_co_u32_e64 v4, s[2:3], s18, v4
	s_lshl_b64 s[8:9], s[14:15], 1
	v_cmp_gt_i32_e64 s[0:1], s14, v10
	v_addc_co_u32_e64 v5, s[2:3], v1, v5, s[2:3]
	s_mov_b64 s[6:7], 0
	v_mov_b32_e32 v1, s9
	v_mov_b32_e32 v6, s15
	;; [unrolled: 1-line block ×4, first 2 shown]
	s_branch .LBB13_6
.LBB13_4:                               ;   in Loop: Header=BB13_6 Depth=1
	s_or_b64 exec, exec, s[18:19]
.LBB13_5:                               ;   in Loop: Header=BB13_6 Depth=1
	s_or_b64 exec, exec, s[10:11]
	v_add_co_u32_e64 v4, s[2:3], s8, v4
	v_add_u32_e32 v7, -1, v7
	v_addc_co_u32_e64 v5, s[2:3], v5, v1, s[2:3]
	v_cmp_eq_u32_e64 s[2:3], 0, v7
	s_or_b64 s[6:7], s[2:3], s[6:7]
	v_add_co_u32_e64 v2, s[2:3], s14, v2
	ds_write_b32 v11, v12
	v_add_u32_e32 v11, 4, v11
	v_addc_co_u32_e64 v3, s[2:3], v3, v6, s[2:3]
	s_andn2_b64 exec, exec, s[6:7]
	s_cbranch_execz .LBB13_9
.LBB13_6:                               ; =>This Inner Loop Header: Depth=1
	v_mov_b32_e32 v12, 0xff800000
	s_and_saveexec_b64 s[10:11], s[0:1]
	s_cbranch_execz .LBB13_5
; %bb.7:                                ;   in Loop: Header=BB13_6 Depth=1
	global_load_ubyte v12, v[2:3], off
	s_waitcnt vmcnt(0)
	v_cmp_ne_u16_e64 s[2:3], 1, v12
	v_mov_b32_e32 v12, 0xc61c4000
	s_and_saveexec_b64 s[18:19], s[2:3]
	s_cbranch_execz .LBB13_4
; %bb.8:                                ;   in Loop: Header=BB13_6 Depth=1
	global_load_ushort v12, v[4:5], off
	s_waitcnt vmcnt(0)
	v_lshlrev_b32_e32 v12, 16, v12
	v_mul_f32_e32 v12, s12, v12
	s_branch .LBB13_4
.LBB13_9:
	s_or_b64 exec, exec, s[6:7]
	ds_read2_b32 v[4:5], v8 offset1:1
.LBB13_10:
	s_or_b64 exec, exec, s[4:5]
	v_mbcnt_lo_u32_b32 v1, -1, 0
	v_mbcnt_hi_u32_b32 v1, -1, v1
	v_and_b32_e32 v2, 0x7c, v1
	v_add_u32_e32 v2, 4, v2
	v_xor_b32_e32 v3, 2, v1
	v_cmp_lt_i32_e64 s[0:1], v3, v2
	v_cndmask_b32_e64 v3, v1, v3, s[0:1]
	v_lshlrev_b32_e32 v6, 2, v3
	s_waitcnt lgkmcnt(0)
	ds_bpermute_b32 v7, v6, v5
	ds_bpermute_b32 v3, v6, v4
	v_xor_b32_e32 v11, 1, v1
	v_cmp_lt_i32_e64 s[0:1], v11, v2
	v_cndmask_b32_e64 v1, v1, v11, s[0:1]
	s_waitcnt lgkmcnt(1)
	v_cmp_lt_f32_e64 s[0:1], v5, v7
	v_lshlrev_b32_e32 v1, 2, v1
	v_cndmask_b32_e64 v2, v5, v7, s[0:1]
	s_waitcnt lgkmcnt(0)
	v_cmp_lt_f32_e64 s[0:1], v4, v3
	ds_bpermute_b32 v7, v1, v2
	v_cndmask_b32_e64 v11, v4, v3, s[0:1]
	ds_bpermute_b32 v12, v1, v11
	s_mov_b32 s2, 0x3fb8aa3b
	s_mov_b32 s3, 0xc2ce8ed0
	s_waitcnt lgkmcnt(1)
	v_cmp_lt_f32_e64 s[0:1], v2, v7
	v_cndmask_b32_e64 v3, v2, v7, s[0:1]
	s_waitcnt lgkmcnt(0)
	v_cmp_lt_f32_e64 s[0:1], v11, v12
	v_cndmask_b32_e64 v2, v11, v12, s[0:1]
	v_pk_add_f32 v[4:5], v[4:5], v[2:3] neg_lo:[0,1] neg_hi:[0,1]
	v_mul_f32_e32 v7, 0x3fb8aa3b, v5
	v_fma_f32 v11, v5, s2, -v7
	v_rndne_f32_e32 v12, v7
	v_fmac_f32_e32 v11, 0x32a5705f, v5
	v_sub_f32_e32 v7, v7, v12
	v_add_f32_e32 v7, v7, v11
	v_exp_f32_e32 v7, v7
	v_cvt_i32_f32_e32 v11, v12
	v_cmp_ngt_f32_e64 s[0:1], s3, v5
	s_mov_b32 s4, 0x42b17218
	v_mov_b32_e32 v14, 0x7f800000
	v_ldexp_f32 v7, v7, v11
	v_mul_f32_e32 v11, 0x3fb8aa3b, v4
	v_fma_f32 v12, v4, s2, -v11
	v_rndne_f32_e32 v13, v11
	v_fmac_f32_e32 v12, 0x32a5705f, v4
	v_sub_f32_e32 v11, v11, v13
	v_add_f32_e32 v11, v11, v12
	v_exp_f32_e32 v11, v11
	v_cvt_i32_f32_e32 v12, v13
	v_cndmask_b32_e64 v7, 0, v7, s[0:1]
	v_cmp_nlt_f32_e64 s[0:1], s4, v5
	v_cndmask_b32_e64 v13, v14, v7, s[0:1]
	v_ldexp_f32 v5, v11, v12
	v_cmp_ngt_f32_e64 s[0:1], s3, v4
	v_cndmask_b32_e64 v5, 0, v5, s[0:1]
	v_cmp_nlt_f32_e64 s[0:1], s4, v4
	v_cndmask_b32_e64 v12, v14, v5, s[0:1]
	ds_bpermute_b32 v4, v6, v12
	ds_bpermute_b32 v5, v6, v13
	s_mov_b32 s18, 0x7f800000
	ds_write2_b32 v8, v12, v13 offset1:1
	s_waitcnt lgkmcnt(1)
	v_pk_add_f32 v[4:5], v[12:13], v[4:5]
	ds_bpermute_b32 v6, v1, v4
	ds_bpermute_b32 v7, v1, v5
	s_and_saveexec_b64 s[0:1], vcc
	s_cbranch_execz .LBB13_21
; %bb.11:
	s_mov_b32 s0, 0xc61c4000
	v_cmp_eq_f32_e32 vcc, s0, v2
	v_ashrrev_i32_e32 v1, 31, v0
	v_cndmask_b32_e64 v2, 1.0, 0, vcc
	v_cmp_eq_f32_e32 vcc, s0, v3
	v_lshlrev_b64 v[0:1], 1, v[0:1]
	v_cndmask_b32_e64 v3, 1.0, 0, vcc
	s_waitcnt lgkmcnt(0)
	v_pk_add_f32 v[4:5], v[4:5], v[6:7]
	v_mov_b32_e32 v6, s17
	v_add_co_u32_e32 v0, vcc, s16, v0
	s_ashr_i32 s15, s14, 31
	v_cmp_gt_i32_e64 s[0:1], s14, v10
	v_addc_co_u32_e32 v1, vcc, v6, v1, vcc
	s_lshl_b64 s[2:3], s[14:15], 1
	s_mov_b64 s[4:5], 0
	s_movk_i32 s14, 0x7fff
	v_mov_b32_e32 v6, 0
	s_mov_b64 s[6:7], 0
	s_branch .LBB13_15
.LBB13_12:                              ;   in Loop: Header=BB13_15 Depth=1
	s_or_b64 exec, exec, s[12:13]
	v_lshrrev_b32_e32 v7, 16, v10
.LBB13_13:                              ;   in Loop: Header=BB13_15 Depth=1
	s_or_b64 exec, exec, s[10:11]
	global_store_short v[0:1], v7, off
.LBB13_14:                              ;   in Loop: Header=BB13_15 Depth=1
	s_or_b64 exec, exec, s[8:9]
	v_mov_b32_e32 v7, s3
	v_add_co_u32_e32 v0, vcc, s2, v0
	s_add_u32 s6, s6, 1
	v_addc_co_u32_e32 v1, vcc, v1, v7, vcc
	s_addc_u32 s7, s7, 0
	v_cmp_eq_u32_e32 vcc, s6, v9
	s_or_b64 s[4:5], vcc, s[4:5]
	v_add_u32_e32 v8, 4, v8
	s_andn2_b64 exec, exec, s[4:5]
	s_cbranch_execz .LBB13_21
.LBB13_15:                              ; =>This Inner Loop Header: Depth=1
	s_and_saveexec_b64 s[8:9], s[0:1]
	s_cbranch_execz .LBB13_14
; %bb.16:                               ;   in Loop: Header=BB13_15 Depth=1
	s_cmp_eq_u32 s6, 1
	s_cselect_b64 vcc, -1, 0
	v_cndmask_b32_e32 v7, v2, v3, vcc
	v_cmp_neq_f32_e32 vcc, 0, v7
	v_mov_b32_e32 v7, 0
	s_and_saveexec_b64 s[10:11], vcc
	s_cbranch_execz .LBB13_13
; %bb.17:                               ;   in Loop: Header=BB13_15 Depth=1
	ds_read_b32 v7, v8
	s_cmp_eq_u32 s6, 1
	s_cselect_b64 vcc, -1, 0
	v_cndmask_b32_e32 v10, v4, v5, vcc
	s_waitcnt lgkmcnt(0)
	v_div_scale_f32 v11, s[12:13], v10, v10, v7
	v_rcp_f32_e32 v12, v11
	v_div_scale_f32 v13, vcc, v7, v10, v7
	v_fma_f32 v14, -v11, v12, 1.0
	v_fmac_f32_e32 v12, v14, v12
	v_mul_f32_e32 v14, v13, v12
	v_fma_f32 v15, -v11, v14, v13
	v_fmac_f32_e32 v14, v15, v12
	v_fma_f32 v11, -v11, v14, v13
	v_div_fmas_f32 v11, v11, v12, v14
	v_div_fixup_f32 v7, v11, v10, v7
	v_and_b32_e32 v10, 0x7f800000, v7
	v_cmp_ne_u32_e32 vcc, s18, v10
                                        ; implicit-def: $vgpr10
	s_and_saveexec_b64 s[12:13], vcc
	s_xor_b64 s[12:13], exec, s[12:13]
; %bb.18:                               ;   in Loop: Header=BB13_15 Depth=1
	v_bfe_u32 v10, v7, 16, 1
	v_add3_u32 v10, v7, v10, s14
                                        ; implicit-def: $vgpr7
; %bb.19:                               ;   in Loop: Header=BB13_15 Depth=1
	s_andn2_saveexec_b64 s[12:13], s[12:13]
	s_cbranch_execz .LBB13_12
; %bb.20:                               ;   in Loop: Header=BB13_15 Depth=1
	v_or_b32_e32 v10, 0x10000, v7
	v_cmp_eq_u32_sdwa vcc, v7, v6 src0_sel:WORD_0 src1_sel:DWORD
	v_cndmask_b32_e32 v10, v10, v7, vcc
	s_branch .LBB13_12
.LBB13_21:
	s_endpgm
	.section	.rodata,"a",@progbits
	.p2align	6, 0x0
	.amdhsa_kernel _Z34scaled_masked_softmax_warp_forwardI14__hip_bfloat16S0_fLi2EEvPT0_PKT_PKhT1_iii
		.amdhsa_group_segment_fixed_size 8192
		.amdhsa_private_segment_fixed_size 0
		.amdhsa_kernarg_size 296
		.amdhsa_user_sgpr_count 8
		.amdhsa_user_sgpr_private_segment_buffer 1
		.amdhsa_user_sgpr_dispatch_ptr 1
		.amdhsa_user_sgpr_queue_ptr 0
		.amdhsa_user_sgpr_kernarg_segment_ptr 1
		.amdhsa_user_sgpr_dispatch_id 0
		.amdhsa_user_sgpr_flat_scratch_init 0
		.amdhsa_user_sgpr_kernarg_preload_length 0
		.amdhsa_user_sgpr_kernarg_preload_offset 0
		.amdhsa_user_sgpr_private_segment_size 0
		.amdhsa_uses_dynamic_stack 0
		.amdhsa_system_sgpr_private_segment_wavefront_offset 0
		.amdhsa_system_sgpr_workgroup_id_x 1
		.amdhsa_system_sgpr_workgroup_id_y 1
		.amdhsa_system_sgpr_workgroup_id_z 1
		.amdhsa_system_sgpr_workgroup_info 0
		.amdhsa_system_vgpr_workitem_id 2
		.amdhsa_next_free_vgpr 16
		.amdhsa_next_free_sgpr 24
		.amdhsa_accum_offset 16
		.amdhsa_reserve_vcc 1
		.amdhsa_reserve_flat_scratch 0
		.amdhsa_float_round_mode_32 0
		.amdhsa_float_round_mode_16_64 0
		.amdhsa_float_denorm_mode_32 3
		.amdhsa_float_denorm_mode_16_64 3
		.amdhsa_dx10_clamp 1
		.amdhsa_ieee_mode 1
		.amdhsa_fp16_overflow 0
		.amdhsa_tg_split 0
		.amdhsa_exception_fp_ieee_invalid_op 0
		.amdhsa_exception_fp_denorm_src 0
		.amdhsa_exception_fp_ieee_div_zero 0
		.amdhsa_exception_fp_ieee_overflow 0
		.amdhsa_exception_fp_ieee_underflow 0
		.amdhsa_exception_fp_ieee_inexact 0
		.amdhsa_exception_int_div_zero 0
	.end_amdhsa_kernel
	.section	.text._Z34scaled_masked_softmax_warp_forwardI14__hip_bfloat16S0_fLi2EEvPT0_PKT_PKhT1_iii,"axG",@progbits,_Z34scaled_masked_softmax_warp_forwardI14__hip_bfloat16S0_fLi2EEvPT0_PKT_PKhT1_iii,comdat
.Lfunc_end13:
	.size	_Z34scaled_masked_softmax_warp_forwardI14__hip_bfloat16S0_fLi2EEvPT0_PKT_PKhT1_iii, .Lfunc_end13-_Z34scaled_masked_softmax_warp_forwardI14__hip_bfloat16S0_fLi2EEvPT0_PKT_PKhT1_iii
                                        ; -- End function
	.section	.AMDGPU.csdata,"",@progbits
; Kernel info:
; codeLenInByte = 1340
; NumSgprs: 28
; NumVgprs: 16
; NumAgprs: 0
; TotalNumVgprs: 16
; ScratchSize: 0
; MemoryBound: 0
; FloatMode: 240
; IeeeMode: 1
; LDSByteSize: 8192 bytes/workgroup (compile time only)
; SGPRBlocks: 3
; VGPRBlocks: 1
; NumSGPRsForWavesPerEU: 28
; NumVGPRsForWavesPerEU: 16
; AccumOffset: 16
; Occupancy: 8
; WaveLimiterHint : 0
; COMPUTE_PGM_RSRC2:SCRATCH_EN: 0
; COMPUTE_PGM_RSRC2:USER_SGPR: 8
; COMPUTE_PGM_RSRC2:TRAP_HANDLER: 0
; COMPUTE_PGM_RSRC2:TGID_X_EN: 1
; COMPUTE_PGM_RSRC2:TGID_Y_EN: 1
; COMPUTE_PGM_RSRC2:TGID_Z_EN: 1
; COMPUTE_PGM_RSRC2:TIDIG_COMP_CNT: 2
; COMPUTE_PGM_RSRC3_GFX90A:ACCUM_OFFSET: 3
; COMPUTE_PGM_RSRC3_GFX90A:TG_SPLIT: 0
	.section	.text._Z34scaled_masked_softmax_warp_forwardI14__hip_bfloat16S0_fLi3EEvPT0_PKT_PKhT1_iii,"axG",@progbits,_Z34scaled_masked_softmax_warp_forwardI14__hip_bfloat16S0_fLi3EEvPT0_PKT_PKhT1_iii,comdat
	.protected	_Z34scaled_masked_softmax_warp_forwardI14__hip_bfloat16S0_fLi3EEvPT0_PKT_PKhT1_iii ; -- Begin function _Z34scaled_masked_softmax_warp_forwardI14__hip_bfloat16S0_fLi3EEvPT0_PKT_PKhT1_iii
	.globl	_Z34scaled_masked_softmax_warp_forwardI14__hip_bfloat16S0_fLi3EEvPT0_PKT_PKhT1_iii
	.p2align	8
	.type	_Z34scaled_masked_softmax_warp_forwardI14__hip_bfloat16S0_fLi3EEvPT0_PKT_PKhT1_iii,@function
_Z34scaled_masked_softmax_warp_forwardI14__hip_bfloat16S0_fLi3EEvPT0_PKT_PKhT1_iii: ; @_Z34scaled_masked_softmax_warp_forwardI14__hip_bfloat16S0_fLi3EEvPT0_PKT_PKhT1_iii
; %bb.0:
	s_load_dword s0, s[6:7], 0x34
	s_load_dwordx4 s[12:15], s[6:7], 0x18
	s_load_dwordx2 s[2:3], s[6:7], 0x28
	s_mov_b32 s11, s8
	s_waitcnt lgkmcnt(0)
	s_lshr_b32 s20, s0, 16
	s_cmp_eq_u32 s15, 1
	s_cbranch_scc1 .LBB14_2
; %bb.1:
	s_mul_i32 s0, s2, s10
	s_add_i32 s11, s0, s8
.LBB14_2:
	s_load_dwordx2 s[22:23], s[4:5], 0x4
	s_load_dwordx4 s[16:19], s[6:7], 0x0
	s_load_dwordx2 s[0:1], s[6:7], 0x10
	s_mul_i32 s3, s3, s10
	s_add_i32 s3, s3, s9
	s_waitcnt lgkmcnt(0)
	s_lshr_b32 s4, s22, 16
	v_and_b32_e32 v10, 0x3ff, v0
	s_mul_i32 s4, s4, s23
	s_mul_i32 s2, s2, s3
	v_bfe_u32 v1, v0, 10, 10
	v_mul_lo_u32 v2, s4, v10
	s_and_b32 s6, 0xffff, s20
	s_add_i32 s2, s2, s8
	v_mad_u32_u24 v2, v1, s23, v2
	v_bfe_u32 v0, v0, 20, 10
	s_mul_i32 s2, s2, s6
	v_add_lshl_u32 v8, v2, v0, 3
	v_add_u32_e32 v0, s2, v1
	v_lshlrev_b32_e32 v2, 1, v0
	v_sub_u32_e32 v2, s13, v2
	v_min_i32_e32 v3, 2, v2
	v_mul_lo_u32 v0, s14, v0
	v_cmp_lt_i32_e32 vcc, 0, v2
	v_max_i32_e32 v9, 1, v3
	v_lshl_add_u32 v0, v0, 1, v10
                                        ; implicit-def: $vgpr5
	s_and_saveexec_b64 s[4:5], vcc
	s_cbranch_execz .LBB14_10
; %bb.3:
	s_mul_i32 s2, s11, s6
	v_add_u32_e32 v1, s2, v1
	v_mul_lo_u32 v1, s14, v1
	v_lshl_add_u32 v1, v1, 1, v10
	v_ashrrev_i32_e32 v3, 31, v1
	v_mov_b32_e32 v4, s1
	v_add_co_u32_e64 v2, s[0:1], s0, v1
	v_ashrrev_i32_e32 v1, 31, v0
	v_addc_co_u32_e64 v3, s[0:1], v4, v3, s[0:1]
	v_lshlrev_b64 v[4:5], 1, v[0:1]
	s_ashr_i32 s15, s14, 31
	v_mov_b32_e32 v1, s19
	v_add_co_u32_e64 v4, s[2:3], s18, v4
	s_lshl_b64 s[8:9], s[14:15], 1
	v_cmp_gt_i32_e64 s[0:1], s14, v10
	v_addc_co_u32_e64 v5, s[2:3], v1, v5, s[2:3]
	s_mov_b64 s[6:7], 0
	v_mov_b32_e32 v1, s9
	v_mov_b32_e32 v6, s15
	;; [unrolled: 1-line block ×4, first 2 shown]
	s_branch .LBB14_6
.LBB14_4:                               ;   in Loop: Header=BB14_6 Depth=1
	s_or_b64 exec, exec, s[18:19]
.LBB14_5:                               ;   in Loop: Header=BB14_6 Depth=1
	s_or_b64 exec, exec, s[10:11]
	v_add_co_u32_e64 v4, s[2:3], s8, v4
	v_add_u32_e32 v7, -1, v7
	v_addc_co_u32_e64 v5, s[2:3], v5, v1, s[2:3]
	v_cmp_eq_u32_e64 s[2:3], 0, v7
	s_or_b64 s[6:7], s[2:3], s[6:7]
	v_add_co_u32_e64 v2, s[2:3], s14, v2
	ds_write_b32 v11, v12
	v_add_u32_e32 v11, 4, v11
	v_addc_co_u32_e64 v3, s[2:3], v3, v6, s[2:3]
	s_andn2_b64 exec, exec, s[6:7]
	s_cbranch_execz .LBB14_9
.LBB14_6:                               ; =>This Inner Loop Header: Depth=1
	v_mov_b32_e32 v12, 0xff800000
	s_and_saveexec_b64 s[10:11], s[0:1]
	s_cbranch_execz .LBB14_5
; %bb.7:                                ;   in Loop: Header=BB14_6 Depth=1
	global_load_ubyte v12, v[2:3], off
	s_waitcnt vmcnt(0)
	v_cmp_ne_u16_e64 s[2:3], 1, v12
	v_mov_b32_e32 v12, 0xc61c4000
	s_and_saveexec_b64 s[18:19], s[2:3]
	s_cbranch_execz .LBB14_4
; %bb.8:                                ;   in Loop: Header=BB14_6 Depth=1
	global_load_ushort v12, v[4:5], off
	s_waitcnt vmcnt(0)
	v_lshlrev_b32_e32 v12, 16, v12
	v_mul_f32_e32 v12, s12, v12
	s_branch .LBB14_4
.LBB14_9:
	s_or_b64 exec, exec, s[6:7]
	ds_read2_b32 v[4:5], v8 offset1:1
.LBB14_10:
	s_or_b64 exec, exec, s[4:5]
	v_mbcnt_lo_u32_b32 v1, -1, 0
	v_mbcnt_hi_u32_b32 v1, -1, v1
	v_and_b32_e32 v2, 0x78, v1
	v_add_u32_e32 v2, 8, v2
	v_xor_b32_e32 v3, 4, v1
	v_cmp_lt_i32_e64 s[0:1], v3, v2
	v_cndmask_b32_e64 v3, v1, v3, s[0:1]
	v_lshlrev_b32_e32 v6, 2, v3
	s_waitcnt lgkmcnt(0)
	ds_bpermute_b32 v7, v6, v5
	ds_bpermute_b32 v3, v6, v4
	v_xor_b32_e32 v11, 2, v1
	v_cmp_lt_i32_e64 s[0:1], v11, v2
	v_xor_b32_e32 v12, 1, v1
	v_cndmask_b32_e64 v11, v1, v11, s[0:1]
	v_cmp_lt_i32_e64 s[0:1], v12, v2
	v_cndmask_b32_e64 v1, v1, v12, s[0:1]
	s_waitcnt lgkmcnt(1)
	v_cmp_lt_f32_e64 s[0:1], v5, v7
	v_lshlrev_b32_e32 v11, 2, v11
	v_cndmask_b32_e64 v2, v5, v7, s[0:1]
	s_waitcnt lgkmcnt(0)
	v_cmp_lt_f32_e64 s[0:1], v4, v3
	ds_bpermute_b32 v7, v11, v2
	v_cndmask_b32_e64 v3, v4, v3, s[0:1]
	ds_bpermute_b32 v12, v11, v3
	v_lshlrev_b32_e32 v1, 2, v1
	s_mov_b32 s2, 0x3fb8aa3b
	s_waitcnt lgkmcnt(1)
	v_cmp_lt_f32_e64 s[0:1], v2, v7
	v_cndmask_b32_e64 v2, v2, v7, s[0:1]
	s_waitcnt lgkmcnt(0)
	v_cmp_lt_f32_e64 s[0:1], v3, v12
	ds_bpermute_b32 v7, v1, v2
	v_cndmask_b32_e64 v12, v3, v12, s[0:1]
	ds_bpermute_b32 v13, v1, v12
	s_mov_b32 s3, 0xc2ce8ed0
	s_mov_b32 s4, 0x42b17218
	s_waitcnt lgkmcnt(1)
	v_cmp_lt_f32_e64 s[0:1], v2, v7
	v_cndmask_b32_e64 v3, v2, v7, s[0:1]
	s_waitcnt lgkmcnt(0)
	v_cmp_lt_f32_e64 s[0:1], v12, v13
	v_cndmask_b32_e64 v2, v12, v13, s[0:1]
	v_pk_add_f32 v[4:5], v[4:5], v[2:3] neg_lo:[0,1] neg_hi:[0,1]
	v_mul_f32_e32 v7, 0x3fb8aa3b, v5
	v_fma_f32 v12, v5, s2, -v7
	v_rndne_f32_e32 v13, v7
	v_fmac_f32_e32 v12, 0x32a5705f, v5
	v_sub_f32_e32 v7, v7, v13
	v_add_f32_e32 v7, v7, v12
	v_exp_f32_e32 v7, v7
	v_cvt_i32_f32_e32 v12, v13
	v_cmp_ngt_f32_e64 s[0:1], s3, v5
	v_mov_b32_e32 v15, 0x7f800000
	s_mov_b32 s18, 0x7f800000
	v_ldexp_f32 v7, v7, v12
	v_mul_f32_e32 v12, 0x3fb8aa3b, v4
	v_fma_f32 v13, v4, s2, -v12
	v_rndne_f32_e32 v14, v12
	v_fmac_f32_e32 v13, 0x32a5705f, v4
	v_sub_f32_e32 v12, v12, v14
	v_add_f32_e32 v12, v12, v13
	v_exp_f32_e32 v12, v12
	v_cvt_i32_f32_e32 v14, v14
	v_cndmask_b32_e64 v7, 0, v7, s[0:1]
	v_cmp_nlt_f32_e64 s[0:1], s4, v5
	v_cndmask_b32_e64 v13, v15, v7, s[0:1]
	v_ldexp_f32 v5, v12, v14
	v_cmp_ngt_f32_e64 s[0:1], s3, v4
	v_cndmask_b32_e64 v5, 0, v5, s[0:1]
	v_cmp_nlt_f32_e64 s[0:1], s4, v4
	v_cndmask_b32_e64 v12, v15, v5, s[0:1]
	ds_bpermute_b32 v4, v6, v12
	ds_bpermute_b32 v5, v6, v13
	ds_write2_b32 v8, v12, v13 offset1:1
	s_waitcnt lgkmcnt(1)
	v_pk_add_f32 v[4:5], v[12:13], v[4:5]
	ds_bpermute_b32 v6, v11, v4
	ds_bpermute_b32 v7, v11, v5
	s_waitcnt lgkmcnt(0)
	v_pk_add_f32 v[4:5], v[4:5], v[6:7]
	ds_bpermute_b32 v6, v1, v4
	ds_bpermute_b32 v7, v1, v5
	s_and_saveexec_b64 s[0:1], vcc
	s_cbranch_execz .LBB14_21
; %bb.11:
	s_mov_b32 s0, 0xc61c4000
	v_cmp_eq_f32_e32 vcc, s0, v2
	v_ashrrev_i32_e32 v1, 31, v0
	v_cndmask_b32_e64 v2, 1.0, 0, vcc
	v_cmp_eq_f32_e32 vcc, s0, v3
	v_lshlrev_b64 v[0:1], 1, v[0:1]
	v_cndmask_b32_e64 v3, 1.0, 0, vcc
	s_waitcnt lgkmcnt(0)
	v_pk_add_f32 v[4:5], v[4:5], v[6:7]
	v_mov_b32_e32 v6, s17
	v_add_co_u32_e32 v0, vcc, s16, v0
	s_ashr_i32 s15, s14, 31
	v_cmp_gt_i32_e64 s[0:1], s14, v10
	v_addc_co_u32_e32 v1, vcc, v6, v1, vcc
	s_lshl_b64 s[2:3], s[14:15], 1
	s_mov_b64 s[4:5], 0
	s_movk_i32 s14, 0x7fff
	v_mov_b32_e32 v6, 0
	s_mov_b64 s[6:7], 0
	s_branch .LBB14_15
.LBB14_12:                              ;   in Loop: Header=BB14_15 Depth=1
	s_or_b64 exec, exec, s[12:13]
	v_lshrrev_b32_e32 v7, 16, v10
.LBB14_13:                              ;   in Loop: Header=BB14_15 Depth=1
	s_or_b64 exec, exec, s[10:11]
	global_store_short v[0:1], v7, off
.LBB14_14:                              ;   in Loop: Header=BB14_15 Depth=1
	s_or_b64 exec, exec, s[8:9]
	v_mov_b32_e32 v7, s3
	v_add_co_u32_e32 v0, vcc, s2, v0
	s_add_u32 s6, s6, 1
	v_addc_co_u32_e32 v1, vcc, v1, v7, vcc
	s_addc_u32 s7, s7, 0
	v_cmp_eq_u32_e32 vcc, s6, v9
	s_or_b64 s[4:5], vcc, s[4:5]
	v_add_u32_e32 v8, 4, v8
	s_andn2_b64 exec, exec, s[4:5]
	s_cbranch_execz .LBB14_21
.LBB14_15:                              ; =>This Inner Loop Header: Depth=1
	s_and_saveexec_b64 s[8:9], s[0:1]
	s_cbranch_execz .LBB14_14
; %bb.16:                               ;   in Loop: Header=BB14_15 Depth=1
	s_cmp_eq_u32 s6, 1
	s_cselect_b64 vcc, -1, 0
	v_cndmask_b32_e32 v7, v2, v3, vcc
	v_cmp_neq_f32_e32 vcc, 0, v7
	v_mov_b32_e32 v7, 0
	s_and_saveexec_b64 s[10:11], vcc
	s_cbranch_execz .LBB14_13
; %bb.17:                               ;   in Loop: Header=BB14_15 Depth=1
	ds_read_b32 v7, v8
	s_cmp_eq_u32 s6, 1
	s_cselect_b64 vcc, -1, 0
	v_cndmask_b32_e32 v10, v4, v5, vcc
	s_waitcnt lgkmcnt(0)
	v_div_scale_f32 v11, s[12:13], v10, v10, v7
	v_rcp_f32_e32 v12, v11
	v_div_scale_f32 v13, vcc, v7, v10, v7
	v_fma_f32 v14, -v11, v12, 1.0
	v_fmac_f32_e32 v12, v14, v12
	v_mul_f32_e32 v14, v13, v12
	v_fma_f32 v15, -v11, v14, v13
	v_fmac_f32_e32 v14, v15, v12
	v_fma_f32 v11, -v11, v14, v13
	v_div_fmas_f32 v11, v11, v12, v14
	v_div_fixup_f32 v7, v11, v10, v7
	v_and_b32_e32 v10, 0x7f800000, v7
	v_cmp_ne_u32_e32 vcc, s18, v10
                                        ; implicit-def: $vgpr10
	s_and_saveexec_b64 s[12:13], vcc
	s_xor_b64 s[12:13], exec, s[12:13]
; %bb.18:                               ;   in Loop: Header=BB14_15 Depth=1
	v_bfe_u32 v10, v7, 16, 1
	v_add3_u32 v10, v7, v10, s14
                                        ; implicit-def: $vgpr7
; %bb.19:                               ;   in Loop: Header=BB14_15 Depth=1
	s_andn2_saveexec_b64 s[12:13], s[12:13]
	s_cbranch_execz .LBB14_12
; %bb.20:                               ;   in Loop: Header=BB14_15 Depth=1
	v_or_b32_e32 v10, 0x10000, v7
	v_cmp_eq_u32_sdwa vcc, v7, v6 src0_sel:WORD_0 src1_sel:DWORD
	v_cndmask_b32_e32 v10, v10, v7, vcc
	s_branch .LBB14_12
.LBB14_21:
	s_endpgm
	.section	.rodata,"a",@progbits
	.p2align	6, 0x0
	.amdhsa_kernel _Z34scaled_masked_softmax_warp_forwardI14__hip_bfloat16S0_fLi3EEvPT0_PKT_PKhT1_iii
		.amdhsa_group_segment_fixed_size 8192
		.amdhsa_private_segment_fixed_size 0
		.amdhsa_kernarg_size 296
		.amdhsa_user_sgpr_count 8
		.amdhsa_user_sgpr_private_segment_buffer 1
		.amdhsa_user_sgpr_dispatch_ptr 1
		.amdhsa_user_sgpr_queue_ptr 0
		.amdhsa_user_sgpr_kernarg_segment_ptr 1
		.amdhsa_user_sgpr_dispatch_id 0
		.amdhsa_user_sgpr_flat_scratch_init 0
		.amdhsa_user_sgpr_kernarg_preload_length 0
		.amdhsa_user_sgpr_kernarg_preload_offset 0
		.amdhsa_user_sgpr_private_segment_size 0
		.amdhsa_uses_dynamic_stack 0
		.amdhsa_system_sgpr_private_segment_wavefront_offset 0
		.amdhsa_system_sgpr_workgroup_id_x 1
		.amdhsa_system_sgpr_workgroup_id_y 1
		.amdhsa_system_sgpr_workgroup_id_z 1
		.amdhsa_system_sgpr_workgroup_info 0
		.amdhsa_system_vgpr_workitem_id 2
		.amdhsa_next_free_vgpr 16
		.amdhsa_next_free_sgpr 24
		.amdhsa_accum_offset 16
		.amdhsa_reserve_vcc 1
		.amdhsa_reserve_flat_scratch 0
		.amdhsa_float_round_mode_32 0
		.amdhsa_float_round_mode_16_64 0
		.amdhsa_float_denorm_mode_32 3
		.amdhsa_float_denorm_mode_16_64 3
		.amdhsa_dx10_clamp 1
		.amdhsa_ieee_mode 1
		.amdhsa_fp16_overflow 0
		.amdhsa_tg_split 0
		.amdhsa_exception_fp_ieee_invalid_op 0
		.amdhsa_exception_fp_denorm_src 0
		.amdhsa_exception_fp_ieee_div_zero 0
		.amdhsa_exception_fp_ieee_overflow 0
		.amdhsa_exception_fp_ieee_underflow 0
		.amdhsa_exception_fp_ieee_inexact 0
		.amdhsa_exception_int_div_zero 0
	.end_amdhsa_kernel
	.section	.text._Z34scaled_masked_softmax_warp_forwardI14__hip_bfloat16S0_fLi3EEvPT0_PKT_PKhT1_iii,"axG",@progbits,_Z34scaled_masked_softmax_warp_forwardI14__hip_bfloat16S0_fLi3EEvPT0_PKT_PKhT1_iii,comdat
.Lfunc_end14:
	.size	_Z34scaled_masked_softmax_warp_forwardI14__hip_bfloat16S0_fLi3EEvPT0_PKT_PKhT1_iii, .Lfunc_end14-_Z34scaled_masked_softmax_warp_forwardI14__hip_bfloat16S0_fLi3EEvPT0_PKT_PKhT1_iii
                                        ; -- End function
	.section	.AMDGPU.csdata,"",@progbits
; Kernel info:
; codeLenInByte = 1448
; NumSgprs: 28
; NumVgprs: 16
; NumAgprs: 0
; TotalNumVgprs: 16
; ScratchSize: 0
; MemoryBound: 0
; FloatMode: 240
; IeeeMode: 1
; LDSByteSize: 8192 bytes/workgroup (compile time only)
; SGPRBlocks: 3
; VGPRBlocks: 1
; NumSGPRsForWavesPerEU: 28
; NumVGPRsForWavesPerEU: 16
; AccumOffset: 16
; Occupancy: 8
; WaveLimiterHint : 0
; COMPUTE_PGM_RSRC2:SCRATCH_EN: 0
; COMPUTE_PGM_RSRC2:USER_SGPR: 8
; COMPUTE_PGM_RSRC2:TRAP_HANDLER: 0
; COMPUTE_PGM_RSRC2:TGID_X_EN: 1
; COMPUTE_PGM_RSRC2:TGID_Y_EN: 1
; COMPUTE_PGM_RSRC2:TGID_Z_EN: 1
; COMPUTE_PGM_RSRC2:TIDIG_COMP_CNT: 2
; COMPUTE_PGM_RSRC3_GFX90A:ACCUM_OFFSET: 3
; COMPUTE_PGM_RSRC3_GFX90A:TG_SPLIT: 0
	.section	.text._Z34scaled_masked_softmax_warp_forwardI14__hip_bfloat16S0_fLi4EEvPT0_PKT_PKhT1_iii,"axG",@progbits,_Z34scaled_masked_softmax_warp_forwardI14__hip_bfloat16S0_fLi4EEvPT0_PKT_PKhT1_iii,comdat
	.protected	_Z34scaled_masked_softmax_warp_forwardI14__hip_bfloat16S0_fLi4EEvPT0_PKT_PKhT1_iii ; -- Begin function _Z34scaled_masked_softmax_warp_forwardI14__hip_bfloat16S0_fLi4EEvPT0_PKT_PKhT1_iii
	.globl	_Z34scaled_masked_softmax_warp_forwardI14__hip_bfloat16S0_fLi4EEvPT0_PKT_PKhT1_iii
	.p2align	8
	.type	_Z34scaled_masked_softmax_warp_forwardI14__hip_bfloat16S0_fLi4EEvPT0_PKT_PKhT1_iii,@function
_Z34scaled_masked_softmax_warp_forwardI14__hip_bfloat16S0_fLi4EEvPT0_PKT_PKhT1_iii: ; @_Z34scaled_masked_softmax_warp_forwardI14__hip_bfloat16S0_fLi4EEvPT0_PKT_PKhT1_iii
; %bb.0:
	s_load_dword s0, s[6:7], 0x34
	s_load_dwordx4 s[12:15], s[6:7], 0x18
	s_load_dwordx2 s[2:3], s[6:7], 0x28
	s_mov_b32 s11, s8
	s_waitcnt lgkmcnt(0)
	s_lshr_b32 s20, s0, 16
	s_cmp_eq_u32 s15, 1
	s_cbranch_scc1 .LBB15_2
; %bb.1:
	s_mul_i32 s0, s2, s10
	s_add_i32 s11, s0, s8
.LBB15_2:
	s_load_dwordx2 s[22:23], s[4:5], 0x4
	s_load_dwordx4 s[16:19], s[6:7], 0x0
	s_load_dwordx2 s[0:1], s[6:7], 0x10
	s_mul_i32 s3, s3, s10
	s_add_i32 s3, s3, s9
	s_waitcnt lgkmcnt(0)
	s_lshr_b32 s4, s22, 16
	v_and_b32_e32 v12, 0x3ff, v0
	s_mul_i32 s4, s4, s23
	s_mul_i32 s2, s2, s3
	v_bfe_u32 v1, v0, 10, 10
	v_mul_lo_u32 v2, s4, v12
	s_and_b32 s6, 0xffff, s20
	s_add_i32 s2, s2, s8
	v_mad_u32_u24 v2, v1, s23, v2
	v_bfe_u32 v0, v0, 20, 10
	s_mul_i32 s2, s2, s6
	v_add_lshl_u32 v10, v2, v0, 3
	v_add_u32_e32 v0, s2, v1
	v_lshlrev_b32_e32 v2, 1, v0
	v_sub_u32_e32 v2, s13, v2
	v_min_i32_e32 v3, 2, v2
	v_mul_lo_u32 v0, s14, v0
	v_cmp_lt_i32_e32 vcc, 0, v2
	v_max_i32_e32 v11, 1, v3
	v_lshl_add_u32 v0, v0, 1, v12
                                        ; implicit-def: $vgpr3
	s_and_saveexec_b64 s[4:5], vcc
	s_cbranch_execz .LBB15_10
; %bb.3:
	s_mul_i32 s2, s11, s6
	v_add_u32_e32 v1, s2, v1
	v_mul_lo_u32 v1, s14, v1
	v_lshl_add_u32 v1, v1, 1, v12
	v_ashrrev_i32_e32 v3, 31, v1
	v_mov_b32_e32 v4, s1
	v_add_co_u32_e64 v2, s[0:1], s0, v1
	v_ashrrev_i32_e32 v1, 31, v0
	v_addc_co_u32_e64 v3, s[0:1], v4, v3, s[0:1]
	v_lshlrev_b64 v[4:5], 1, v[0:1]
	s_ashr_i32 s15, s14, 31
	v_mov_b32_e32 v1, s19
	v_add_co_u32_e64 v4, s[2:3], s18, v4
	s_lshl_b64 s[8:9], s[14:15], 1
	v_cmp_gt_i32_e64 s[0:1], s14, v12
	v_addc_co_u32_e64 v5, s[2:3], v1, v5, s[2:3]
	s_mov_b64 s[6:7], 0
	v_mov_b32_e32 v1, s9
	v_mov_b32_e32 v6, s15
	;; [unrolled: 1-line block ×4, first 2 shown]
	s_branch .LBB15_6
.LBB15_4:                               ;   in Loop: Header=BB15_6 Depth=1
	s_or_b64 exec, exec, s[18:19]
.LBB15_5:                               ;   in Loop: Header=BB15_6 Depth=1
	s_or_b64 exec, exec, s[10:11]
	v_add_co_u32_e64 v4, s[2:3], s8, v4
	v_add_u32_e32 v7, -1, v7
	v_addc_co_u32_e64 v5, s[2:3], v5, v1, s[2:3]
	v_cmp_eq_u32_e64 s[2:3], 0, v7
	s_or_b64 s[6:7], s[2:3], s[6:7]
	v_add_co_u32_e64 v2, s[2:3], s14, v2
	ds_write_b32 v8, v9
	v_add_u32_e32 v8, 4, v8
	v_addc_co_u32_e64 v3, s[2:3], v3, v6, s[2:3]
	s_andn2_b64 exec, exec, s[6:7]
	s_cbranch_execz .LBB15_9
.LBB15_6:                               ; =>This Inner Loop Header: Depth=1
	v_mov_b32_e32 v9, 0xff800000
	s_and_saveexec_b64 s[10:11], s[0:1]
	s_cbranch_execz .LBB15_5
; %bb.7:                                ;   in Loop: Header=BB15_6 Depth=1
	global_load_ubyte v9, v[2:3], off
	s_waitcnt vmcnt(0)
	v_cmp_ne_u16_e64 s[2:3], 1, v9
	v_mov_b32_e32 v9, 0xc61c4000
	s_and_saveexec_b64 s[18:19], s[2:3]
	s_cbranch_execz .LBB15_4
; %bb.8:                                ;   in Loop: Header=BB15_6 Depth=1
	global_load_ushort v9, v[4:5], off
	s_waitcnt vmcnt(0)
	v_lshlrev_b32_e32 v9, 16, v9
	v_mul_f32_e32 v9, s12, v9
	s_branch .LBB15_4
.LBB15_9:
	s_or_b64 exec, exec, s[6:7]
	ds_read2_b32 v[2:3], v10 offset1:1
.LBB15_10:
	s_or_b64 exec, exec, s[4:5]
	v_mbcnt_lo_u32_b32 v1, -1, 0
	v_mbcnt_hi_u32_b32 v1, -1, v1
	v_and_b32_e32 v4, 0x70, v1
	v_add_u32_e32 v4, 16, v4
	v_xor_b32_e32 v5, 8, v1
	v_cmp_lt_i32_e64 s[0:1], v5, v4
	v_cndmask_b32_e64 v5, v1, v5, s[0:1]
	v_lshlrev_b32_e32 v7, 2, v5
	s_waitcnt lgkmcnt(0)
	ds_bpermute_b32 v6, v7, v3
	v_xor_b32_e32 v8, 4, v1
	ds_bpermute_b32 v5, v7, v2
	v_cmp_lt_i32_e64 s[0:1], v8, v4
	v_cndmask_b32_e64 v8, v1, v8, s[0:1]
	v_lshlrev_b32_e32 v9, 2, v8
	v_xor_b32_e32 v8, 2, v1
	v_cmp_lt_i32_e64 s[0:1], v8, v4
	v_cndmask_b32_e64 v8, v1, v8, s[0:1]
	s_waitcnt lgkmcnt(1)
	v_cmp_lt_f32_e64 s[0:1], v3, v6
	v_cndmask_b32_e64 v6, v3, v6, s[0:1]
	s_waitcnt lgkmcnt(0)
	v_cmp_lt_f32_e64 s[0:1], v2, v5
	ds_bpermute_b32 v14, v9, v6
	v_cndmask_b32_e64 v5, v2, v5, s[0:1]
	ds_bpermute_b32 v15, v9, v5
	v_lshlrev_b32_e32 v13, 2, v8
	v_xor_b32_e32 v8, 1, v1
	v_cmp_lt_i32_e64 s[0:1], v8, v4
	v_cndmask_b32_e64 v1, v1, v8, s[0:1]
	s_waitcnt lgkmcnt(1)
	v_cmp_lt_f32_e64 s[0:1], v6, v14
	v_cndmask_b32_e64 v4, v6, v14, s[0:1]
	s_waitcnt lgkmcnt(0)
	v_cmp_lt_f32_e64 s[0:1], v5, v15
	ds_bpermute_b32 v6, v13, v4
	v_cndmask_b32_e64 v5, v5, v15, s[0:1]
	ds_bpermute_b32 v8, v13, v5
	v_lshlrev_b32_e32 v1, 2, v1
	s_mov_b32 s2, 0x3fb8aa3b
	s_waitcnt lgkmcnt(1)
	v_cmp_lt_f32_e64 s[0:1], v4, v6
	v_cndmask_b32_e64 v4, v4, v6, s[0:1]
	s_waitcnt lgkmcnt(0)
	v_cmp_lt_f32_e64 s[0:1], v5, v8
	ds_bpermute_b32 v6, v1, v4
	v_cndmask_b32_e64 v8, v5, v8, s[0:1]
	ds_bpermute_b32 v14, v1, v8
	s_mov_b32 s3, 0xc2ce8ed0
	s_mov_b32 s4, 0x42b17218
	s_waitcnt lgkmcnt(1)
	v_cmp_lt_f32_e64 s[0:1], v4, v6
	v_cndmask_b32_e64 v5, v4, v6, s[0:1]
	s_waitcnt lgkmcnt(0)
	v_cmp_lt_f32_e64 s[0:1], v8, v14
	v_cndmask_b32_e64 v4, v8, v14, s[0:1]
	v_pk_add_f32 v[2:3], v[2:3], v[4:5] neg_lo:[0,1] neg_hi:[0,1]
	v_mul_f32_e32 v6, 0x3fb8aa3b, v3
	v_fma_f32 v8, v3, s2, -v6
	v_rndne_f32_e32 v14, v6
	v_fmac_f32_e32 v8, 0x32a5705f, v3
	v_sub_f32_e32 v6, v6, v14
	v_add_f32_e32 v6, v6, v8
	v_exp_f32_e32 v6, v6
	v_cvt_i32_f32_e32 v8, v14
	v_cmp_ngt_f32_e64 s[0:1], s3, v3
	s_mov_b32 s18, 0x7f800000
	v_ldexp_f32 v6, v6, v8
	v_mul_f32_e32 v8, 0x3fb8aa3b, v2
	v_fma_f32 v14, v2, s2, -v8
	v_rndne_f32_e32 v15, v8
	v_fmac_f32_e32 v14, 0x32a5705f, v2
	v_sub_f32_e32 v8, v8, v15
	v_add_f32_e32 v8, v8, v14
	v_exp_f32_e32 v8, v8
	v_cvt_i32_f32_e32 v14, v15
	v_cndmask_b32_e64 v6, 0, v6, s[0:1]
	v_mov_b32_e32 v15, 0x7f800000
	v_cmp_nlt_f32_e64 s[0:1], s4, v3
	v_cndmask_b32_e64 v3, v15, v6, s[0:1]
	v_ldexp_f32 v6, v8, v14
	v_cmp_ngt_f32_e64 s[0:1], s3, v2
	v_cndmask_b32_e64 v6, 0, v6, s[0:1]
	v_cmp_nlt_f32_e64 s[0:1], s4, v2
	v_cndmask_b32_e64 v2, v15, v6, s[0:1]
	ds_bpermute_b32 v6, v7, v2
	ds_bpermute_b32 v7, v7, v3
	ds_write2_b32 v10, v2, v3 offset1:1
	s_waitcnt lgkmcnt(1)
	v_pk_add_f32 v[6:7], v[2:3], v[6:7]
	ds_bpermute_b32 v8, v9, v6
	ds_bpermute_b32 v9, v9, v7
	s_waitcnt lgkmcnt(0)
	v_pk_add_f32 v[6:7], v[6:7], v[8:9]
	ds_bpermute_b32 v8, v13, v6
	ds_bpermute_b32 v9, v13, v7
	;; [unrolled: 4-line block ×3, first 2 shown]
	s_and_saveexec_b64 s[0:1], vcc
	s_cbranch_execz .LBB15_21
; %bb.11:
	s_mov_b32 s0, 0xc61c4000
	v_cmp_eq_f32_e32 vcc, s0, v4
	v_ashrrev_i32_e32 v1, 31, v0
	v_cndmask_b32_e64 v2, 1.0, 0, vcc
	v_cmp_eq_f32_e32 vcc, s0, v5
	v_lshlrev_b64 v[0:1], 1, v[0:1]
	v_cndmask_b32_e64 v3, 1.0, 0, vcc
	s_waitcnt lgkmcnt(0)
	v_pk_add_f32 v[4:5], v[6:7], v[8:9]
	v_mov_b32_e32 v6, s17
	v_add_co_u32_e32 v0, vcc, s16, v0
	s_ashr_i32 s15, s14, 31
	v_cmp_gt_i32_e64 s[0:1], s14, v12
	v_addc_co_u32_e32 v1, vcc, v6, v1, vcc
	s_lshl_b64 s[2:3], s[14:15], 1
	s_mov_b64 s[4:5], 0
	s_movk_i32 s14, 0x7fff
	v_mov_b32_e32 v6, 0
	s_mov_b64 s[6:7], 0
	s_branch .LBB15_15
.LBB15_12:                              ;   in Loop: Header=BB15_15 Depth=1
	s_or_b64 exec, exec, s[12:13]
	v_lshrrev_b32_e32 v7, 16, v8
.LBB15_13:                              ;   in Loop: Header=BB15_15 Depth=1
	s_or_b64 exec, exec, s[10:11]
	global_store_short v[0:1], v7, off
.LBB15_14:                              ;   in Loop: Header=BB15_15 Depth=1
	s_or_b64 exec, exec, s[8:9]
	v_mov_b32_e32 v7, s3
	v_add_co_u32_e32 v0, vcc, s2, v0
	s_add_u32 s6, s6, 1
	v_addc_co_u32_e32 v1, vcc, v1, v7, vcc
	s_addc_u32 s7, s7, 0
	v_cmp_eq_u32_e32 vcc, s6, v11
	s_or_b64 s[4:5], vcc, s[4:5]
	v_add_u32_e32 v10, 4, v10
	s_andn2_b64 exec, exec, s[4:5]
	s_cbranch_execz .LBB15_21
.LBB15_15:                              ; =>This Inner Loop Header: Depth=1
	s_and_saveexec_b64 s[8:9], s[0:1]
	s_cbranch_execz .LBB15_14
; %bb.16:                               ;   in Loop: Header=BB15_15 Depth=1
	s_cmp_eq_u32 s6, 1
	s_cselect_b64 vcc, -1, 0
	v_cndmask_b32_e32 v7, v2, v3, vcc
	v_cmp_neq_f32_e32 vcc, 0, v7
	v_mov_b32_e32 v7, 0
	s_and_saveexec_b64 s[10:11], vcc
	s_cbranch_execz .LBB15_13
; %bb.17:                               ;   in Loop: Header=BB15_15 Depth=1
	ds_read_b32 v7, v10
	s_cmp_eq_u32 s6, 1
	s_cselect_b64 vcc, -1, 0
	v_cndmask_b32_e32 v8, v4, v5, vcc
	s_waitcnt lgkmcnt(0)
	v_div_scale_f32 v9, s[12:13], v8, v8, v7
	v_rcp_f32_e32 v12, v9
	v_div_scale_f32 v13, vcc, v7, v8, v7
	v_fma_f32 v14, -v9, v12, 1.0
	v_fmac_f32_e32 v12, v14, v12
	v_mul_f32_e32 v14, v13, v12
	v_fma_f32 v15, -v9, v14, v13
	v_fmac_f32_e32 v14, v15, v12
	v_fma_f32 v9, -v9, v14, v13
	v_div_fmas_f32 v9, v9, v12, v14
	v_div_fixup_f32 v7, v9, v8, v7
	v_and_b32_e32 v8, 0x7f800000, v7
	v_cmp_ne_u32_e32 vcc, s18, v8
                                        ; implicit-def: $vgpr8
	s_and_saveexec_b64 s[12:13], vcc
	s_xor_b64 s[12:13], exec, s[12:13]
; %bb.18:                               ;   in Loop: Header=BB15_15 Depth=1
	v_bfe_u32 v8, v7, 16, 1
	v_add3_u32 v8, v7, v8, s14
                                        ; implicit-def: $vgpr7
; %bb.19:                               ;   in Loop: Header=BB15_15 Depth=1
	s_andn2_saveexec_b64 s[12:13], s[12:13]
	s_cbranch_execz .LBB15_12
; %bb.20:                               ;   in Loop: Header=BB15_15 Depth=1
	v_or_b32_e32 v8, 0x10000, v7
	v_cmp_eq_u32_sdwa vcc, v7, v6 src0_sel:WORD_0 src1_sel:DWORD
	v_cndmask_b32_e32 v8, v8, v7, vcc
	s_branch .LBB15_12
.LBB15_21:
	s_endpgm
	.section	.rodata,"a",@progbits
	.p2align	6, 0x0
	.amdhsa_kernel _Z34scaled_masked_softmax_warp_forwardI14__hip_bfloat16S0_fLi4EEvPT0_PKT_PKhT1_iii
		.amdhsa_group_segment_fixed_size 8192
		.amdhsa_private_segment_fixed_size 0
		.amdhsa_kernarg_size 296
		.amdhsa_user_sgpr_count 8
		.amdhsa_user_sgpr_private_segment_buffer 1
		.amdhsa_user_sgpr_dispatch_ptr 1
		.amdhsa_user_sgpr_queue_ptr 0
		.amdhsa_user_sgpr_kernarg_segment_ptr 1
		.amdhsa_user_sgpr_dispatch_id 0
		.amdhsa_user_sgpr_flat_scratch_init 0
		.amdhsa_user_sgpr_kernarg_preload_length 0
		.amdhsa_user_sgpr_kernarg_preload_offset 0
		.amdhsa_user_sgpr_private_segment_size 0
		.amdhsa_uses_dynamic_stack 0
		.amdhsa_system_sgpr_private_segment_wavefront_offset 0
		.amdhsa_system_sgpr_workgroup_id_x 1
		.amdhsa_system_sgpr_workgroup_id_y 1
		.amdhsa_system_sgpr_workgroup_id_z 1
		.amdhsa_system_sgpr_workgroup_info 0
		.amdhsa_system_vgpr_workitem_id 2
		.amdhsa_next_free_vgpr 16
		.amdhsa_next_free_sgpr 24
		.amdhsa_accum_offset 16
		.amdhsa_reserve_vcc 1
		.amdhsa_reserve_flat_scratch 0
		.amdhsa_float_round_mode_32 0
		.amdhsa_float_round_mode_16_64 0
		.amdhsa_float_denorm_mode_32 3
		.amdhsa_float_denorm_mode_16_64 3
		.amdhsa_dx10_clamp 1
		.amdhsa_ieee_mode 1
		.amdhsa_fp16_overflow 0
		.amdhsa_tg_split 0
		.amdhsa_exception_fp_ieee_invalid_op 0
		.amdhsa_exception_fp_denorm_src 0
		.amdhsa_exception_fp_ieee_div_zero 0
		.amdhsa_exception_fp_ieee_overflow 0
		.amdhsa_exception_fp_ieee_underflow 0
		.amdhsa_exception_fp_ieee_inexact 0
		.amdhsa_exception_int_div_zero 0
	.end_amdhsa_kernel
	.section	.text._Z34scaled_masked_softmax_warp_forwardI14__hip_bfloat16S0_fLi4EEvPT0_PKT_PKhT1_iii,"axG",@progbits,_Z34scaled_masked_softmax_warp_forwardI14__hip_bfloat16S0_fLi4EEvPT0_PKT_PKhT1_iii,comdat
.Lfunc_end15:
	.size	_Z34scaled_masked_softmax_warp_forwardI14__hip_bfloat16S0_fLi4EEvPT0_PKT_PKhT1_iii, .Lfunc_end15-_Z34scaled_masked_softmax_warp_forwardI14__hip_bfloat16S0_fLi4EEvPT0_PKT_PKhT1_iii
                                        ; -- End function
	.section	.AMDGPU.csdata,"",@progbits
; Kernel info:
; codeLenInByte = 1556
; NumSgprs: 28
; NumVgprs: 16
; NumAgprs: 0
; TotalNumVgprs: 16
; ScratchSize: 0
; MemoryBound: 0
; FloatMode: 240
; IeeeMode: 1
; LDSByteSize: 8192 bytes/workgroup (compile time only)
; SGPRBlocks: 3
; VGPRBlocks: 1
; NumSGPRsForWavesPerEU: 28
; NumVGPRsForWavesPerEU: 16
; AccumOffset: 16
; Occupancy: 8
; WaveLimiterHint : 0
; COMPUTE_PGM_RSRC2:SCRATCH_EN: 0
; COMPUTE_PGM_RSRC2:USER_SGPR: 8
; COMPUTE_PGM_RSRC2:TRAP_HANDLER: 0
; COMPUTE_PGM_RSRC2:TGID_X_EN: 1
; COMPUTE_PGM_RSRC2:TGID_Y_EN: 1
; COMPUTE_PGM_RSRC2:TGID_Z_EN: 1
; COMPUTE_PGM_RSRC2:TIDIG_COMP_CNT: 2
; COMPUTE_PGM_RSRC3_GFX90A:ACCUM_OFFSET: 3
; COMPUTE_PGM_RSRC3_GFX90A:TG_SPLIT: 0
	.section	.text._Z34scaled_masked_softmax_warp_forwardI14__hip_bfloat16S0_fLi5EEvPT0_PKT_PKhT1_iii,"axG",@progbits,_Z34scaled_masked_softmax_warp_forwardI14__hip_bfloat16S0_fLi5EEvPT0_PKT_PKhT1_iii,comdat
	.protected	_Z34scaled_masked_softmax_warp_forwardI14__hip_bfloat16S0_fLi5EEvPT0_PKT_PKhT1_iii ; -- Begin function _Z34scaled_masked_softmax_warp_forwardI14__hip_bfloat16S0_fLi5EEvPT0_PKT_PKhT1_iii
	.globl	_Z34scaled_masked_softmax_warp_forwardI14__hip_bfloat16S0_fLi5EEvPT0_PKT_PKhT1_iii
	.p2align	8
	.type	_Z34scaled_masked_softmax_warp_forwardI14__hip_bfloat16S0_fLi5EEvPT0_PKT_PKhT1_iii,@function
_Z34scaled_masked_softmax_warp_forwardI14__hip_bfloat16S0_fLi5EEvPT0_PKT_PKhT1_iii: ; @_Z34scaled_masked_softmax_warp_forwardI14__hip_bfloat16S0_fLi5EEvPT0_PKT_PKhT1_iii
; %bb.0:
	s_load_dword s0, s[6:7], 0x34
	s_load_dwordx4 s[12:15], s[6:7], 0x18
	s_load_dwordx2 s[2:3], s[6:7], 0x28
	s_mov_b32 s11, s8
	s_waitcnt lgkmcnt(0)
	s_lshr_b32 s20, s0, 16
	s_cmp_eq_u32 s15, 1
	s_cbranch_scc1 .LBB16_2
; %bb.1:
	s_mul_i32 s0, s2, s10
	s_add_i32 s11, s0, s8
.LBB16_2:
	s_load_dwordx2 s[22:23], s[4:5], 0x4
	s_load_dwordx4 s[16:19], s[6:7], 0x0
	s_load_dwordx2 s[0:1], s[6:7], 0x10
	s_mul_i32 s3, s3, s10
	s_add_i32 s3, s3, s9
	s_waitcnt lgkmcnt(0)
	s_lshr_b32 s4, s22, 16
	v_and_b32_e32 v12, 0x3ff, v0
	s_mul_i32 s4, s4, s23
	s_mul_i32 s2, s2, s3
	v_bfe_u32 v1, v0, 10, 10
	v_mul_lo_u32 v2, s4, v12
	s_and_b32 s6, 0xffff, s20
	s_add_i32 s2, s2, s8
	v_mad_u32_u24 v2, v1, s23, v2
	v_bfe_u32 v0, v0, 20, 10
	s_mul_i32 s2, s2, s6
	v_add_lshl_u32 v10, v2, v0, 3
	v_add_u32_e32 v0, s2, v1
	v_lshlrev_b32_e32 v2, 1, v0
	v_sub_u32_e32 v2, s13, v2
	v_min_i32_e32 v3, 2, v2
	v_mul_lo_u32 v0, s14, v0
	v_cmp_lt_i32_e32 vcc, 0, v2
	v_max_i32_e32 v11, 1, v3
	v_lshl_add_u32 v0, v0, 1, v12
                                        ; implicit-def: $vgpr3
	s_and_saveexec_b64 s[4:5], vcc
	s_cbranch_execz .LBB16_10
; %bb.3:
	s_mul_i32 s2, s11, s6
	v_add_u32_e32 v1, s2, v1
	v_mul_lo_u32 v1, s14, v1
	v_lshl_add_u32 v1, v1, 1, v12
	v_ashrrev_i32_e32 v3, 31, v1
	v_mov_b32_e32 v4, s1
	v_add_co_u32_e64 v2, s[0:1], s0, v1
	v_ashrrev_i32_e32 v1, 31, v0
	v_addc_co_u32_e64 v3, s[0:1], v4, v3, s[0:1]
	v_lshlrev_b64 v[4:5], 1, v[0:1]
	s_ashr_i32 s15, s14, 31
	v_mov_b32_e32 v1, s19
	v_add_co_u32_e64 v4, s[2:3], s18, v4
	s_lshl_b64 s[8:9], s[14:15], 1
	v_cmp_gt_i32_e64 s[0:1], s14, v12
	v_addc_co_u32_e64 v5, s[2:3], v1, v5, s[2:3]
	s_mov_b64 s[6:7], 0
	v_mov_b32_e32 v1, s9
	v_mov_b32_e32 v6, s15
	;; [unrolled: 1-line block ×4, first 2 shown]
	s_branch .LBB16_6
.LBB16_4:                               ;   in Loop: Header=BB16_6 Depth=1
	s_or_b64 exec, exec, s[18:19]
.LBB16_5:                               ;   in Loop: Header=BB16_6 Depth=1
	s_or_b64 exec, exec, s[10:11]
	v_add_co_u32_e64 v4, s[2:3], s8, v4
	v_add_u32_e32 v7, -1, v7
	v_addc_co_u32_e64 v5, s[2:3], v5, v1, s[2:3]
	v_cmp_eq_u32_e64 s[2:3], 0, v7
	s_or_b64 s[6:7], s[2:3], s[6:7]
	v_add_co_u32_e64 v2, s[2:3], s14, v2
	ds_write_b32 v8, v9
	v_add_u32_e32 v8, 4, v8
	v_addc_co_u32_e64 v3, s[2:3], v3, v6, s[2:3]
	s_andn2_b64 exec, exec, s[6:7]
	s_cbranch_execz .LBB16_9
.LBB16_6:                               ; =>This Inner Loop Header: Depth=1
	v_mov_b32_e32 v9, 0xff800000
	s_and_saveexec_b64 s[10:11], s[0:1]
	s_cbranch_execz .LBB16_5
; %bb.7:                                ;   in Loop: Header=BB16_6 Depth=1
	global_load_ubyte v9, v[2:3], off
	s_waitcnt vmcnt(0)
	v_cmp_ne_u16_e64 s[2:3], 1, v9
	v_mov_b32_e32 v9, 0xc61c4000
	s_and_saveexec_b64 s[18:19], s[2:3]
	s_cbranch_execz .LBB16_4
; %bb.8:                                ;   in Loop: Header=BB16_6 Depth=1
	global_load_ushort v9, v[4:5], off
	s_waitcnt vmcnt(0)
	v_lshlrev_b32_e32 v9, 16, v9
	v_mul_f32_e32 v9, s12, v9
	s_branch .LBB16_4
.LBB16_9:
	s_or_b64 exec, exec, s[6:7]
	ds_read2_b32 v[2:3], v10 offset1:1
.LBB16_10:
	s_or_b64 exec, exec, s[4:5]
	v_mbcnt_lo_u32_b32 v1, -1, 0
	v_mbcnt_hi_u32_b32 v1, -1, v1
	v_and_b32_e32 v4, 0x60, v1
	v_add_u32_e32 v4, 32, v4
	v_xor_b32_e32 v5, 16, v1
	v_cmp_lt_i32_e64 s[0:1], v5, v4
	v_xor_b32_e32 v8, 8, v1
	v_cndmask_b32_e64 v5, v1, v5, s[0:1]
	v_cmp_lt_i32_e64 s[0:1], v8, v4
	v_lshlrev_b32_e32 v7, 2, v5
	v_cndmask_b32_e64 v8, v1, v8, s[0:1]
	s_waitcnt lgkmcnt(0)
	ds_bpermute_b32 v6, v7, v3
	v_lshlrev_b32_e32 v9, 2, v8
	v_xor_b32_e32 v8, 4, v1
	ds_bpermute_b32 v5, v7, v2
	v_cmp_lt_i32_e64 s[0:1], v8, v4
	v_cndmask_b32_e64 v8, v1, v8, s[0:1]
	v_lshlrev_b32_e32 v13, 2, v8
	v_xor_b32_e32 v8, 2, v1
	v_cmp_lt_i32_e64 s[0:1], v8, v4
	v_cndmask_b32_e64 v8, v1, v8, s[0:1]
	s_waitcnt lgkmcnt(1)
	v_cmp_lt_f32_e64 s[0:1], v3, v6
	v_cndmask_b32_e64 v6, v3, v6, s[0:1]
	s_waitcnt lgkmcnt(0)
	v_cmp_lt_f32_e64 s[0:1], v2, v5
	v_lshlrev_b32_e32 v14, 2, v8
	ds_bpermute_b32 v8, v9, v6
	v_cndmask_b32_e64 v5, v2, v5, s[0:1]
	ds_bpermute_b32 v15, v9, v5
	v_xor_b32_e32 v16, 1, v1
	s_mov_b32 s2, 0x3fb8aa3b
	s_waitcnt lgkmcnt(1)
	v_cmp_lt_f32_e64 s[0:1], v6, v8
	v_cndmask_b32_e64 v6, v6, v8, s[0:1]
	s_waitcnt lgkmcnt(0)
	v_cmp_lt_f32_e64 s[0:1], v5, v15
	ds_bpermute_b32 v8, v13, v6
	v_cndmask_b32_e64 v5, v5, v15, s[0:1]
	ds_bpermute_b32 v15, v13, v5
	v_cmp_lt_i32_e64 s[0:1], v16, v4
	v_cndmask_b32_e64 v1, v1, v16, s[0:1]
	s_waitcnt lgkmcnt(1)
	v_cmp_lt_f32_e64 s[0:1], v6, v8
	v_cndmask_b32_e64 v4, v6, v8, s[0:1]
	s_waitcnt lgkmcnt(0)
	v_cmp_lt_f32_e64 s[0:1], v5, v15
	ds_bpermute_b32 v6, v14, v4
	v_cndmask_b32_e64 v5, v5, v15, s[0:1]
	ds_bpermute_b32 v8, v14, v5
	v_lshlrev_b32_e32 v1, 2, v1
	s_mov_b32 s3, 0xc2ce8ed0
	s_waitcnt lgkmcnt(1)
	v_cmp_lt_f32_e64 s[0:1], v4, v6
	v_cndmask_b32_e64 v4, v4, v6, s[0:1]
	s_waitcnt lgkmcnt(0)
	v_cmp_lt_f32_e64 s[0:1], v5, v8
	ds_bpermute_b32 v6, v1, v4
	v_cndmask_b32_e64 v8, v5, v8, s[0:1]
	ds_bpermute_b32 v15, v1, v8
	s_mov_b32 s4, 0x42b17218
	s_mov_b32 s18, 0x7f800000
	s_waitcnt lgkmcnt(1)
	v_cmp_lt_f32_e64 s[0:1], v4, v6
	v_cndmask_b32_e64 v5, v4, v6, s[0:1]
	s_waitcnt lgkmcnt(0)
	v_cmp_lt_f32_e64 s[0:1], v8, v15
	v_cndmask_b32_e64 v4, v8, v15, s[0:1]
	v_pk_add_f32 v[2:3], v[2:3], v[4:5] neg_lo:[0,1] neg_hi:[0,1]
	v_mul_f32_e32 v6, 0x3fb8aa3b, v3
	v_fma_f32 v8, v3, s2, -v6
	v_rndne_f32_e32 v15, v6
	v_fmac_f32_e32 v8, 0x32a5705f, v3
	v_sub_f32_e32 v6, v6, v15
	v_add_f32_e32 v6, v6, v8
	v_exp_f32_e32 v6, v6
	v_cvt_i32_f32_e32 v8, v15
	v_cmp_ngt_f32_e64 s[0:1], s3, v3
	v_ldexp_f32 v6, v6, v8
	v_mul_f32_e32 v8, 0x3fb8aa3b, v2
	v_fma_f32 v15, v2, s2, -v8
	v_rndne_f32_e32 v16, v8
	v_fmac_f32_e32 v15, 0x32a5705f, v2
	v_sub_f32_e32 v8, v8, v16
	v_add_f32_e32 v8, v8, v15
	v_exp_f32_e32 v8, v8
	v_cvt_i32_f32_e32 v15, v16
	v_cndmask_b32_e64 v6, 0, v6, s[0:1]
	v_mov_b32_e32 v16, 0x7f800000
	v_cmp_nlt_f32_e64 s[0:1], s4, v3
	v_cndmask_b32_e64 v3, v16, v6, s[0:1]
	v_ldexp_f32 v6, v8, v15
	v_cmp_ngt_f32_e64 s[0:1], s3, v2
	v_cndmask_b32_e64 v6, 0, v6, s[0:1]
	v_cmp_nlt_f32_e64 s[0:1], s4, v2
	v_cndmask_b32_e64 v2, v16, v6, s[0:1]
	ds_bpermute_b32 v6, v7, v2
	ds_bpermute_b32 v7, v7, v3
	ds_write2_b32 v10, v2, v3 offset1:1
	s_waitcnt lgkmcnt(1)
	v_pk_add_f32 v[6:7], v[2:3], v[6:7]
	ds_bpermute_b32 v8, v9, v6
	ds_bpermute_b32 v9, v9, v7
	s_waitcnt lgkmcnt(0)
	v_pk_add_f32 v[6:7], v[6:7], v[8:9]
	ds_bpermute_b32 v8, v13, v6
	ds_bpermute_b32 v9, v13, v7
	;; [unrolled: 4-line block ×4, first 2 shown]
	s_and_saveexec_b64 s[0:1], vcc
	s_cbranch_execz .LBB16_21
; %bb.11:
	s_mov_b32 s0, 0xc61c4000
	v_cmp_eq_f32_e32 vcc, s0, v4
	v_ashrrev_i32_e32 v1, 31, v0
	v_cndmask_b32_e64 v2, 1.0, 0, vcc
	v_cmp_eq_f32_e32 vcc, s0, v5
	v_lshlrev_b64 v[0:1], 1, v[0:1]
	v_cndmask_b32_e64 v3, 1.0, 0, vcc
	s_waitcnt lgkmcnt(0)
	v_pk_add_f32 v[4:5], v[6:7], v[8:9]
	v_mov_b32_e32 v6, s17
	v_add_co_u32_e32 v0, vcc, s16, v0
	s_ashr_i32 s15, s14, 31
	v_cmp_gt_i32_e64 s[0:1], s14, v12
	v_addc_co_u32_e32 v1, vcc, v6, v1, vcc
	s_lshl_b64 s[2:3], s[14:15], 1
	s_mov_b64 s[4:5], 0
	s_movk_i32 s14, 0x7fff
	v_mov_b32_e32 v6, 0
	s_mov_b64 s[6:7], 0
	s_branch .LBB16_15
.LBB16_12:                              ;   in Loop: Header=BB16_15 Depth=1
	s_or_b64 exec, exec, s[12:13]
	v_lshrrev_b32_e32 v7, 16, v8
.LBB16_13:                              ;   in Loop: Header=BB16_15 Depth=1
	s_or_b64 exec, exec, s[10:11]
	global_store_short v[0:1], v7, off
.LBB16_14:                              ;   in Loop: Header=BB16_15 Depth=1
	s_or_b64 exec, exec, s[8:9]
	v_mov_b32_e32 v7, s3
	v_add_co_u32_e32 v0, vcc, s2, v0
	s_add_u32 s6, s6, 1
	v_addc_co_u32_e32 v1, vcc, v1, v7, vcc
	s_addc_u32 s7, s7, 0
	v_cmp_eq_u32_e32 vcc, s6, v11
	s_or_b64 s[4:5], vcc, s[4:5]
	v_add_u32_e32 v10, 4, v10
	s_andn2_b64 exec, exec, s[4:5]
	s_cbranch_execz .LBB16_21
.LBB16_15:                              ; =>This Inner Loop Header: Depth=1
	s_and_saveexec_b64 s[8:9], s[0:1]
	s_cbranch_execz .LBB16_14
; %bb.16:                               ;   in Loop: Header=BB16_15 Depth=1
	s_cmp_eq_u32 s6, 1
	s_cselect_b64 vcc, -1, 0
	v_cndmask_b32_e32 v7, v2, v3, vcc
	v_cmp_neq_f32_e32 vcc, 0, v7
	v_mov_b32_e32 v7, 0
	s_and_saveexec_b64 s[10:11], vcc
	s_cbranch_execz .LBB16_13
; %bb.17:                               ;   in Loop: Header=BB16_15 Depth=1
	ds_read_b32 v7, v10
	s_cmp_eq_u32 s6, 1
	s_cselect_b64 vcc, -1, 0
	v_cndmask_b32_e32 v8, v4, v5, vcc
	s_waitcnt lgkmcnt(0)
	v_div_scale_f32 v9, s[12:13], v8, v8, v7
	v_rcp_f32_e32 v12, v9
	v_div_scale_f32 v13, vcc, v7, v8, v7
	v_fma_f32 v14, -v9, v12, 1.0
	v_fmac_f32_e32 v12, v14, v12
	v_mul_f32_e32 v14, v13, v12
	v_fma_f32 v15, -v9, v14, v13
	v_fmac_f32_e32 v14, v15, v12
	v_fma_f32 v9, -v9, v14, v13
	v_div_fmas_f32 v9, v9, v12, v14
	v_div_fixup_f32 v7, v9, v8, v7
	v_and_b32_e32 v8, 0x7f800000, v7
	v_cmp_ne_u32_e32 vcc, s18, v8
                                        ; implicit-def: $vgpr8
	s_and_saveexec_b64 s[12:13], vcc
	s_xor_b64 s[12:13], exec, s[12:13]
; %bb.18:                               ;   in Loop: Header=BB16_15 Depth=1
	v_bfe_u32 v8, v7, 16, 1
	v_add3_u32 v8, v7, v8, s14
                                        ; implicit-def: $vgpr7
; %bb.19:                               ;   in Loop: Header=BB16_15 Depth=1
	s_andn2_saveexec_b64 s[12:13], s[12:13]
	s_cbranch_execz .LBB16_12
; %bb.20:                               ;   in Loop: Header=BB16_15 Depth=1
	v_or_b32_e32 v8, 0x10000, v7
	v_cmp_eq_u32_sdwa vcc, v7, v6 src0_sel:WORD_0 src1_sel:DWORD
	v_cndmask_b32_e32 v8, v8, v7, vcc
	s_branch .LBB16_12
.LBB16_21:
	s_endpgm
	.section	.rodata,"a",@progbits
	.p2align	6, 0x0
	.amdhsa_kernel _Z34scaled_masked_softmax_warp_forwardI14__hip_bfloat16S0_fLi5EEvPT0_PKT_PKhT1_iii
		.amdhsa_group_segment_fixed_size 8192
		.amdhsa_private_segment_fixed_size 0
		.amdhsa_kernarg_size 296
		.amdhsa_user_sgpr_count 8
		.amdhsa_user_sgpr_private_segment_buffer 1
		.amdhsa_user_sgpr_dispatch_ptr 1
		.amdhsa_user_sgpr_queue_ptr 0
		.amdhsa_user_sgpr_kernarg_segment_ptr 1
		.amdhsa_user_sgpr_dispatch_id 0
		.amdhsa_user_sgpr_flat_scratch_init 0
		.amdhsa_user_sgpr_kernarg_preload_length 0
		.amdhsa_user_sgpr_kernarg_preload_offset 0
		.amdhsa_user_sgpr_private_segment_size 0
		.amdhsa_uses_dynamic_stack 0
		.amdhsa_system_sgpr_private_segment_wavefront_offset 0
		.amdhsa_system_sgpr_workgroup_id_x 1
		.amdhsa_system_sgpr_workgroup_id_y 1
		.amdhsa_system_sgpr_workgroup_id_z 1
		.amdhsa_system_sgpr_workgroup_info 0
		.amdhsa_system_vgpr_workitem_id 2
		.amdhsa_next_free_vgpr 17
		.amdhsa_next_free_sgpr 24
		.amdhsa_accum_offset 20
		.amdhsa_reserve_vcc 1
		.amdhsa_reserve_flat_scratch 0
		.amdhsa_float_round_mode_32 0
		.amdhsa_float_round_mode_16_64 0
		.amdhsa_float_denorm_mode_32 3
		.amdhsa_float_denorm_mode_16_64 3
		.amdhsa_dx10_clamp 1
		.amdhsa_ieee_mode 1
		.amdhsa_fp16_overflow 0
		.amdhsa_tg_split 0
		.amdhsa_exception_fp_ieee_invalid_op 0
		.amdhsa_exception_fp_denorm_src 0
		.amdhsa_exception_fp_ieee_div_zero 0
		.amdhsa_exception_fp_ieee_overflow 0
		.amdhsa_exception_fp_ieee_underflow 0
		.amdhsa_exception_fp_ieee_inexact 0
		.amdhsa_exception_int_div_zero 0
	.end_amdhsa_kernel
	.section	.text._Z34scaled_masked_softmax_warp_forwardI14__hip_bfloat16S0_fLi5EEvPT0_PKT_PKhT1_iii,"axG",@progbits,_Z34scaled_masked_softmax_warp_forwardI14__hip_bfloat16S0_fLi5EEvPT0_PKT_PKhT1_iii,comdat
.Lfunc_end16:
	.size	_Z34scaled_masked_softmax_warp_forwardI14__hip_bfloat16S0_fLi5EEvPT0_PKT_PKhT1_iii, .Lfunc_end16-_Z34scaled_masked_softmax_warp_forwardI14__hip_bfloat16S0_fLi5EEvPT0_PKT_PKhT1_iii
                                        ; -- End function
	.section	.AMDGPU.csdata,"",@progbits
; Kernel info:
; codeLenInByte = 1664
; NumSgprs: 28
; NumVgprs: 17
; NumAgprs: 0
; TotalNumVgprs: 17
; ScratchSize: 0
; MemoryBound: 0
; FloatMode: 240
; IeeeMode: 1
; LDSByteSize: 8192 bytes/workgroup (compile time only)
; SGPRBlocks: 3
; VGPRBlocks: 2
; NumSGPRsForWavesPerEU: 28
; NumVGPRsForWavesPerEU: 17
; AccumOffset: 20
; Occupancy: 8
; WaveLimiterHint : 0
; COMPUTE_PGM_RSRC2:SCRATCH_EN: 0
; COMPUTE_PGM_RSRC2:USER_SGPR: 8
; COMPUTE_PGM_RSRC2:TRAP_HANDLER: 0
; COMPUTE_PGM_RSRC2:TGID_X_EN: 1
; COMPUTE_PGM_RSRC2:TGID_Y_EN: 1
; COMPUTE_PGM_RSRC2:TGID_Z_EN: 1
; COMPUTE_PGM_RSRC2:TIDIG_COMP_CNT: 2
; COMPUTE_PGM_RSRC3_GFX90A:ACCUM_OFFSET: 4
; COMPUTE_PGM_RSRC3_GFX90A:TG_SPLIT: 0
	.section	.text._Z34scaled_masked_softmax_warp_forwardI14__hip_bfloat16S0_fLi6EEvPT0_PKT_PKhT1_iii,"axG",@progbits,_Z34scaled_masked_softmax_warp_forwardI14__hip_bfloat16S0_fLi6EEvPT0_PKT_PKhT1_iii,comdat
	.protected	_Z34scaled_masked_softmax_warp_forwardI14__hip_bfloat16S0_fLi6EEvPT0_PKT_PKhT1_iii ; -- Begin function _Z34scaled_masked_softmax_warp_forwardI14__hip_bfloat16S0_fLi6EEvPT0_PKT_PKhT1_iii
	.globl	_Z34scaled_masked_softmax_warp_forwardI14__hip_bfloat16S0_fLi6EEvPT0_PKT_PKhT1_iii
	.p2align	8
	.type	_Z34scaled_masked_softmax_warp_forwardI14__hip_bfloat16S0_fLi6EEvPT0_PKT_PKhT1_iii,@function
_Z34scaled_masked_softmax_warp_forwardI14__hip_bfloat16S0_fLi6EEvPT0_PKT_PKhT1_iii: ; @_Z34scaled_masked_softmax_warp_forwardI14__hip_bfloat16S0_fLi6EEvPT0_PKT_PKhT1_iii
; %bb.0:
	s_load_dword s2, s[6:7], 0x34
	s_load_dwordx4 s[12:15], s[6:7], 0x18
	s_load_dwordx2 s[0:1], s[6:7], 0x28
	s_mov_b32 s11, s8
	s_waitcnt lgkmcnt(0)
	s_lshr_b32 s20, s2, 16
	s_cmp_eq_u32 s15, 1
	s_cbranch_scc1 .LBB17_2
; %bb.1:
	s_mul_i32 s2, s0, s10
	s_add_i32 s11, s2, s8
.LBB17_2:
	s_load_dwordx2 s[22:23], s[4:5], 0x4
	s_load_dwordx4 s[16:19], s[6:7], 0x0
	s_load_dwordx2 s[2:3], s[6:7], 0x10
	s_mul_i32 s1, s1, s10
	s_add_i32 s1, s1, s9
	s_waitcnt lgkmcnt(0)
	s_lshr_b32 s4, s22, 16
	v_and_b32_e32 v11, 0x3ff, v0
	s_mul_i32 s4, s4, s23
	s_mul_i32 s0, s0, s1
	v_bfe_u32 v1, v0, 10, 10
	v_mul_lo_u32 v2, s4, v11
	s_and_b32 s4, 0xffff, s20
	s_add_i32 s0, s0, s8
	v_mad_u32_u24 v2, v1, s23, v2
	v_bfe_u32 v0, v0, 20, 10
	s_mul_i32 s0, s0, s4
	v_add_lshl_u32 v7, v2, v0, 4
	v_add_u32_e32 v0, s0, v1
	v_lshlrev_b32_e32 v2, 1, v0
	v_sub_u32_e32 v2, s13, v2
	v_cmp_lt_i32_e32 vcc, 0, v2
	v_cmp_gt_i32_e64 s[0:1], 1, v2
                                        ; implicit-def: $vgpr3
	s_and_saveexec_b64 s[6:7], s[0:1]
	s_xor_b64 s[0:1], exec, s[6:7]
	s_cbranch_execz .LBB17_4
; %bb.3:
	ds_read_b32 v3, v7 offset:12
                                        ; implicit-def: $vgpr1
.LBB17_4:
	s_or_saveexec_b64 s[6:7], s[0:1]
	v_min_i32_e32 v2, 2, v2
	v_mul_lo_u32 v0, s14, v0
	v_max_i32_e32 v10, 1, v2
	v_add_u32_e32 v12, 32, v11
	v_lshl_add_u32 v4, v0, 1, v11
	s_xor_b64 exec, exec, s[6:7]
	s_cbranch_execz .LBB17_16
; %bb.5:
	s_mul_i32 s0, s11, s4
	v_add_u32_e32 v0, s0, v1
	v_mul_lo_u32 v0, s14, v0
	v_lshl_add_u32 v0, v0, 1, v11
	v_ashrrev_i32_e32 v1, 31, v0
	v_mov_b32_e32 v2, s3
	v_add_co_u32_e64 v0, s[0:1], s2, v0
	v_addc_co_u32_e64 v1, s[0:1], v2, v1, s[0:1]
	v_add_co_u32_e64 v0, s[4:5], 32, v0
	v_ashrrev_i32_e32 v5, 31, v4
	v_addc_co_u32_e64 v1, s[4:5], 0, v1, s[4:5]
	s_waitcnt lgkmcnt(0)
	v_lshlrev_b64 v[2:3], 1, v[4:5]
	v_mov_b32_e32 v5, s19
	v_add_co_u32_e64 v2, s[4:5], s18, v2
	v_addc_co_u32_e64 v3, s[4:5], v3, v5, s[4:5]
	s_ashr_i32 s15, s14, 31
	v_add_co_u32_e64 v2, s[4:5], 64, v2
	s_lshl_b64 s[10:11], s[14:15], 1
	v_cmp_gt_i32_e64 s[0:1], s14, v11
	v_cmp_gt_i32_e64 s[2:3], s14, v12
	v_addc_co_u32_e64 v3, s[4:5], 0, v3, s[4:5]
	s_mov_b64 s[8:9], 0
	v_mov_b32_e32 v5, s11
	v_mov_b32_e32 v6, s15
	;; [unrolled: 1-line block ×4, first 2 shown]
	s_branch .LBB17_8
.LBB17_6:                               ;   in Loop: Header=BB17_8 Depth=1
	s_or_b64 exec, exec, s[20:21]
.LBB17_7:                               ;   in Loop: Header=BB17_8 Depth=1
	s_or_b64 exec, exec, s[18:19]
	v_add_co_u32_e64 v2, s[4:5], s10, v2
	v_add_u32_e32 v8, -1, v8
	v_addc_co_u32_e64 v3, s[4:5], v3, v5, s[4:5]
	v_cmp_eq_u32_e64 s[4:5], 0, v8
	s_or_b64 s[8:9], s[4:5], s[8:9]
	v_add_co_u32_e64 v0, s[4:5], s14, v0
	ds_write_b32 v9, v13 offset:4
	v_add_u32_e32 v9, 8, v9
	v_addc_co_u32_e64 v1, s[4:5], v1, v6, s[4:5]
	s_andn2_b64 exec, exec, s[8:9]
	s_cbranch_execz .LBB17_15
.LBB17_8:                               ; =>This Inner Loop Header: Depth=1
	v_mov_b32_e32 v13, 0xff800000
	v_mov_b32_e32 v14, 0xff800000
	s_and_saveexec_b64 s[18:19], s[0:1]
	s_cbranch_execz .LBB17_12
; %bb.9:                                ;   in Loop: Header=BB17_8 Depth=1
	global_load_ubyte v14, v[0:1], off offset:-32
	s_waitcnt vmcnt(0)
	v_cmp_ne_u16_e64 s[4:5], 1, v14
	v_mov_b32_e32 v14, 0xc61c4000
	s_and_saveexec_b64 s[20:21], s[4:5]
	s_cbranch_execz .LBB17_11
; %bb.10:                               ;   in Loop: Header=BB17_8 Depth=1
	global_load_ushort v14, v[2:3], off offset:-64
	s_waitcnt vmcnt(0)
	v_lshlrev_b32_e32 v14, 16, v14
	v_mul_f32_e32 v14, s12, v14
.LBB17_11:                              ;   in Loop: Header=BB17_8 Depth=1
	s_or_b64 exec, exec, s[20:21]
.LBB17_12:                              ;   in Loop: Header=BB17_8 Depth=1
	s_or_b64 exec, exec, s[18:19]
	ds_write_b32 v9, v14
	s_and_saveexec_b64 s[18:19], s[2:3]
	s_cbranch_execz .LBB17_7
; %bb.13:                               ;   in Loop: Header=BB17_8 Depth=1
	global_load_ubyte v13, v[0:1], off
	s_waitcnt vmcnt(0)
	v_cmp_ne_u16_e64 s[4:5], 1, v13
	v_mov_b32_e32 v13, 0xc61c4000
	s_and_saveexec_b64 s[20:21], s[4:5]
	s_cbranch_execz .LBB17_6
; %bb.14:                               ;   in Loop: Header=BB17_8 Depth=1
	global_load_ushort v13, v[2:3], off
	s_waitcnt vmcnt(0)
	v_lshlrev_b32_e32 v13, 16, v13
	v_mul_f32_e32 v13, s12, v13
	s_branch .LBB17_6
.LBB17_15:
	s_or_b64 exec, exec, s[8:9]
	ds_read_b128 v[0:3], v7
.LBB17_16:
	s_or_b64 exec, exec, s[6:7]
	v_mbcnt_lo_u32_b32 v8, -1, 0
	v_mbcnt_hi_u32_b32 v8, -1, v8
	s_waitcnt lgkmcnt(0)
	v_cmp_gt_f32_e64 s[0:1], v0, v1
	v_and_b32_e32 v9, 0x60, v8
	v_cndmask_b32_e64 v5, v1, v0, s[0:1]
	v_cmp_gt_f32_e64 s[0:1], v2, v3
	v_add_u32_e32 v9, 32, v9
	v_xor_b32_e32 v13, 16, v8
	v_cndmask_b32_e64 v6, v3, v2, s[0:1]
	v_cmp_lt_i32_e64 s[0:1], v13, v9
	v_xor_b32_e32 v16, 8, v8
	v_cndmask_b32_e64 v13, v8, v13, s[0:1]
	v_cmp_lt_i32_e64 s[0:1], v16, v9
	v_lshlrev_b32_e32 v13, 2, v13
	v_cndmask_b32_e64 v16, v8, v16, s[0:1]
	ds_bpermute_b32 v14, v13, v5
	v_lshlrev_b32_e32 v18, 2, v16
	v_xor_b32_e32 v16, 4, v8
	v_cmp_lt_i32_e64 s[0:1], v16, v9
	v_cndmask_b32_e64 v16, v8, v16, s[0:1]
	v_lshlrev_b32_e32 v19, 2, v16
	v_xor_b32_e32 v16, 2, v8
	v_cmp_lt_i32_e64 s[0:1], v16, v9
	v_cndmask_b32_e64 v16, v8, v16, s[0:1]
	s_waitcnt lgkmcnt(0)
	v_cmp_lt_f32_e64 s[0:1], v5, v14
	ds_bpermute_b32 v15, v13, v6
	v_cndmask_b32_e64 v5, v5, v14, s[0:1]
	ds_bpermute_b32 v14, v18, v5
	v_lshlrev_b32_e32 v20, 2, v16
	v_xor_b32_e32 v16, 1, v8
	s_waitcnt lgkmcnt(1)
	v_cmp_lt_f32_e64 s[0:1], v6, v15
	v_cndmask_b32_e64 v6, v6, v15, s[0:1]
	s_waitcnt lgkmcnt(0)
	v_cmp_lt_f32_e64 s[0:1], v5, v14
	ds_bpermute_b32 v15, v18, v6
	v_cndmask_b32_e64 v5, v5, v14, s[0:1]
	ds_bpermute_b32 v14, v19, v5
	v_cmp_lt_i32_e64 s[0:1], v16, v9
	v_cndmask_b32_e64 v8, v8, v16, s[0:1]
	s_waitcnt lgkmcnt(1)
	v_cmp_lt_f32_e64 s[0:1], v6, v15
	v_cndmask_b32_e64 v6, v6, v15, s[0:1]
	s_waitcnt lgkmcnt(0)
	v_cmp_lt_f32_e64 s[0:1], v5, v14
	ds_bpermute_b32 v9, v19, v6
	v_cndmask_b32_e64 v5, v5, v14, s[0:1]
	ds_bpermute_b32 v14, v20, v5
	v_lshlrev_b32_e32 v21, 2, v8
	s_mov_b32 s2, 0x3fb8aa3b
	s_waitcnt lgkmcnt(1)
	v_cmp_lt_f32_e64 s[0:1], v6, v9
	v_cndmask_b32_e64 v6, v6, v9, s[0:1]
	s_waitcnt lgkmcnt(0)
	v_cmp_lt_f32_e64 s[0:1], v5, v14
	ds_bpermute_b32 v8, v20, v6
	v_cndmask_b32_e64 v5, v5, v14, s[0:1]
	ds_bpermute_b32 v9, v21, v5
	s_mov_b32 s3, 0xc2ce8ed0
	s_mov_b32 s4, 0x42b17218
	s_waitcnt lgkmcnt(1)
	v_cmp_lt_f32_e64 s[0:1], v6, v8
	v_cndmask_b32_e64 v14, v6, v8, s[0:1]
	s_waitcnt lgkmcnt(0)
	v_cmp_lt_f32_e64 s[0:1], v5, v9
	v_cndmask_b32_e64 v6, v5, v9, s[0:1]
	v_pk_add_f32 v[8:9], v[0:1], v[6:7] op_sel_hi:[1,0] neg_lo:[0,1] neg_hi:[0,1]
	v_mul_f32_e32 v0, 0x3fb8aa3b, v9
	v_fma_f32 v1, v9, s2, -v0
	v_rndne_f32_e32 v5, v0
	v_fmac_f32_e32 v1, 0x32a5705f, v9
	v_sub_f32_e32 v0, v0, v5
	ds_bpermute_b32 v15, v21, v14
	v_add_f32_e32 v0, v0, v1
	v_exp_f32_e32 v1, v0
	v_cvt_i32_f32_e32 v5, v5
	v_mov_b32_e32 v16, 0x7f800000
	s_waitcnt lgkmcnt(0)
	v_cmp_lt_f32_e64 s[0:1], v14, v15
	v_cndmask_b32_e64 v0, v14, v15, s[0:1]
	v_ldexp_f32 v1, v1, v5
	v_mul_f32_e32 v5, 0x3fb8aa3b, v8
	v_fma_f32 v14, v8, s2, -v5
	v_rndne_f32_e32 v15, v5
	v_fmac_f32_e32 v14, 0x32a5705f, v8
	v_sub_f32_e32 v5, v5, v15
	v_add_f32_e32 v5, v5, v14
	v_exp_f32_e32 v5, v5
	v_cvt_i32_f32_e32 v14, v15
	v_cmp_ngt_f32_e64 s[0:1], s3, v9
	v_cndmask_b32_e64 v1, 0, v1, s[0:1]
	v_cmp_nlt_f32_e64 s[0:1], s4, v9
	v_cndmask_b32_e64 v15, v16, v1, s[0:1]
	v_ldexp_f32 v1, v5, v14
	v_pk_add_f32 v[2:3], v[2:3], v[0:1] op_sel_hi:[1,0] neg_lo:[0,1] neg_hi:[0,1]
	v_mul_f32_e32 v5, 0x3fb8aa3b, v3
	v_fma_f32 v9, v3, s2, -v5
	v_rndne_f32_e32 v14, v5
	v_fmac_f32_e32 v9, 0x32a5705f, v3
	v_sub_f32_e32 v5, v5, v14
	v_add_f32_e32 v5, v5, v9
	v_exp_f32_e32 v5, v5
	v_cvt_i32_f32_e32 v9, v14
	v_cmp_ngt_f32_e64 s[0:1], s3, v8
	v_cndmask_b32_e64 v1, 0, v1, s[0:1]
	v_cmp_nlt_f32_e64 s[0:1], s4, v8
	v_cndmask_b32_e64 v14, v16, v1, s[0:1]
	v_ldexp_f32 v1, v5, v9
	v_mul_f32_e32 v5, 0x3fb8aa3b, v2
	v_fma_f32 v8, v2, s2, -v5
	v_rndne_f32_e32 v9, v5
	v_fmac_f32_e32 v8, 0x32a5705f, v2
	v_sub_f32_e32 v5, v5, v9
	v_add_f32_e32 v5, v5, v8
	v_exp_f32_e32 v5, v5
	v_cvt_i32_f32_e32 v8, v9
	v_cmp_ngt_f32_e64 s[0:1], s3, v3
	v_cndmask_b32_e64 v1, 0, v1, s[0:1]
	v_cmp_nlt_f32_e64 s[0:1], s4, v3
	v_cndmask_b32_e64 v17, v16, v1, s[0:1]
	v_ldexp_f32 v1, v5, v8
	v_cmp_ngt_f32_e64 s[0:1], s3, v2
	v_cndmask_b32_e64 v1, 0, v1, s[0:1]
	v_cmp_nlt_f32_e64 s[0:1], s4, v2
	v_cndmask_b32_e64 v16, v16, v1, s[0:1]
	ds_write_b128 v7, v[14:17]
	v_mov_b32_e32 v2, v14
	v_mov_b32_e32 v3, v16
	;; [unrolled: 1-line block ×3, first 2 shown]
	v_pk_add_f32 v[2:3], v[2:3], v[16:17]
	ds_bpermute_b32 v8, v13, v2
	ds_bpermute_b32 v9, v13, v3
	s_mov_b32 s18, 0x7f800000
	s_waitcnt lgkmcnt(0)
	v_pk_add_f32 v[2:3], v[2:3], v[8:9]
	ds_bpermute_b32 v8, v18, v2
	ds_bpermute_b32 v9, v18, v3
	s_waitcnt lgkmcnt(0)
	v_pk_add_f32 v[2:3], v[2:3], v[8:9]
	ds_bpermute_b32 v8, v19, v2
	ds_bpermute_b32 v9, v19, v3
	;; [unrolled: 4-line block ×4, first 2 shown]
	s_and_saveexec_b64 s[0:1], vcc
	s_cbranch_execz .LBB17_34
; %bb.17:
	s_mov_b32 s0, 0xc61c4000
	v_cmp_eq_f32_e32 vcc, s0, v0
	v_ashrrev_i32_e32 v5, 31, v4
	v_cndmask_b32_e64 v1, 1.0, 0, vcc
	v_cmp_eq_f32_e32 vcc, s0, v6
	v_lshlrev_b64 v[4:5], 1, v[4:5]
	v_cndmask_b32_e64 v0, 1.0, 0, vcc
	v_mov_b32_e32 v6, s17
	v_add_co_u32_e32 v4, vcc, s16, v4
	v_addc_co_u32_e32 v5, vcc, v5, v6, vcc
	v_add_co_u32_e32 v4, vcc, 64, v4
	s_ashr_i32 s15, s14, 31
	s_waitcnt lgkmcnt(0)
	v_pk_add_f32 v[2:3], v[2:3], v[8:9]
	v_cmp_gt_i32_e64 s[0:1], s14, v11
	v_cmp_gt_i32_e64 s[2:3], s14, v12
	v_addc_co_u32_e32 v5, vcc, 0, v5, vcc
	s_lshl_b64 s[6:7], s[14:15], 1
	s_mov_b64 s[8:9], 0
	s_movk_i32 s19, 0x7fff
	v_mov_b32_e32 v6, 0
	s_mov_b64 s[10:11], 0
	s_branch .LBB17_21
.LBB17_18:                              ;   in Loop: Header=BB17_21 Depth=1
	s_or_b64 exec, exec, s[4:5]
	v_lshrrev_b32_e32 v9, 16, v9
.LBB17_19:                              ;   in Loop: Header=BB17_21 Depth=1
	s_or_b64 exec, exec, s[14:15]
	global_store_short v[4:5], v9, off
.LBB17_20:                              ;   in Loop: Header=BB17_21 Depth=1
	s_or_b64 exec, exec, s[12:13]
	s_add_u32 s10, s10, 1
	s_addc_u32 s11, s11, 0
	v_cmp_eq_u32_e32 vcc, s10, v10
	v_mov_b32_e32 v8, s7
	s_or_b64 s[8:9], vcc, s[8:9]
	v_add_co_u32_e32 v4, vcc, s6, v4
	v_add_u32_e32 v7, 8, v7
	v_addc_co_u32_e32 v5, vcc, v5, v8, vcc
	s_andn2_b64 exec, exec, s[8:9]
	s_cbranch_execz .LBB17_34
.LBB17_21:                              ; =>This Inner Loop Header: Depth=1
	s_and_saveexec_b64 s[12:13], s[0:1]
	s_cbranch_execz .LBB17_20
; %bb.22:                               ;   in Loop: Header=BB17_21 Depth=1
	s_cmp_eq_u32 s10, 1
	s_cselect_b64 vcc, -1, 0
	v_cndmask_b32_e32 v8, v0, v1, vcc
	v_cmp_neq_f32_e64 s[4:5], 0, v8
	v_cndmask_b32_e32 v8, v2, v3, vcc
	v_mov_b32_e32 v9, 0
	s_and_saveexec_b64 s[14:15], s[4:5]
	s_cbranch_execz .LBB17_28
; %bb.23:                               ;   in Loop: Header=BB17_21 Depth=1
	ds_read_b32 v9, v7
	s_waitcnt lgkmcnt(0)
	v_div_scale_f32 v11, s[16:17], v8, v8, v9
	v_rcp_f32_e32 v12, v11
	v_div_scale_f32 v13, vcc, v9, v8, v9
	v_fma_f32 v14, -v11, v12, 1.0
	v_fmac_f32_e32 v12, v14, v12
	v_mul_f32_e32 v14, v13, v12
	v_fma_f32 v15, -v11, v14, v13
	v_fmac_f32_e32 v14, v15, v12
	v_fma_f32 v11, -v11, v14, v13
	v_div_fmas_f32 v11, v11, v12, v14
	v_div_fixup_f32 v9, v11, v8, v9
	v_and_b32_e32 v11, 0x7f800000, v9
	v_cmp_ne_u32_e32 vcc, s18, v11
                                        ; implicit-def: $vgpr11
	s_and_saveexec_b64 s[16:17], vcc
	s_xor_b64 s[16:17], exec, s[16:17]
; %bb.24:                               ;   in Loop: Header=BB17_21 Depth=1
	v_bfe_u32 v11, v9, 16, 1
	v_add3_u32 v11, v9, v11, s19
                                        ; implicit-def: $vgpr9
; %bb.25:                               ;   in Loop: Header=BB17_21 Depth=1
	s_andn2_saveexec_b64 s[16:17], s[16:17]
; %bb.26:                               ;   in Loop: Header=BB17_21 Depth=1
	v_or_b32_e32 v11, 0x10000, v9
	v_cmp_eq_u32_sdwa vcc, v9, v6 src0_sel:WORD_0 src1_sel:DWORD
	v_cndmask_b32_e32 v11, v11, v9, vcc
; %bb.27:                               ;   in Loop: Header=BB17_21 Depth=1
	s_or_b64 exec, exec, s[16:17]
	v_lshrrev_b32_e32 v9, 16, v11
.LBB17_28:                              ;   in Loop: Header=BB17_21 Depth=1
	s_or_b64 exec, exec, s[14:15]
	global_store_short v[4:5], v9, off offset:-64
	s_and_b64 exec, exec, s[2:3]
	s_cbranch_execz .LBB17_20
; %bb.29:                               ;   in Loop: Header=BB17_21 Depth=1
	v_mov_b32_e32 v9, 0
	s_and_saveexec_b64 s[14:15], s[4:5]
	s_cbranch_execz .LBB17_19
; %bb.30:                               ;   in Loop: Header=BB17_21 Depth=1
	ds_read_b32 v9, v7 offset:4
	s_waitcnt lgkmcnt(0)
	v_div_scale_f32 v11, s[4:5], v8, v8, v9
	v_rcp_f32_e32 v12, v11
	v_div_scale_f32 v13, vcc, v9, v8, v9
	v_fma_f32 v14, -v11, v12, 1.0
	v_fmac_f32_e32 v12, v14, v12
	v_mul_f32_e32 v14, v13, v12
	v_fma_f32 v15, -v11, v14, v13
	v_fmac_f32_e32 v14, v15, v12
	v_fma_f32 v11, -v11, v14, v13
	v_div_fmas_f32 v11, v11, v12, v14
	v_div_fixup_f32 v8, v11, v8, v9
	v_and_b32_e32 v9, 0x7f800000, v8
	v_cmp_ne_u32_e32 vcc, s18, v9
                                        ; implicit-def: $vgpr9
	s_and_saveexec_b64 s[4:5], vcc
	s_xor_b64 s[4:5], exec, s[4:5]
; %bb.31:                               ;   in Loop: Header=BB17_21 Depth=1
	v_bfe_u32 v9, v8, 16, 1
	v_add3_u32 v9, v8, v9, s19
                                        ; implicit-def: $vgpr8
; %bb.32:                               ;   in Loop: Header=BB17_21 Depth=1
	s_andn2_saveexec_b64 s[4:5], s[4:5]
	s_cbranch_execz .LBB17_18
; %bb.33:                               ;   in Loop: Header=BB17_21 Depth=1
	v_or_b32_e32 v9, 0x10000, v8
	v_cmp_eq_u32_sdwa vcc, v8, v6 src0_sel:WORD_0 src1_sel:DWORD
	v_cndmask_b32_e32 v9, v9, v8, vcc
	s_branch .LBB17_18
.LBB17_34:
	s_endpgm
	.section	.rodata,"a",@progbits
	.p2align	6, 0x0
	.amdhsa_kernel _Z34scaled_masked_softmax_warp_forwardI14__hip_bfloat16S0_fLi6EEvPT0_PKT_PKhT1_iii
		.amdhsa_group_segment_fixed_size 16384
		.amdhsa_private_segment_fixed_size 0
		.amdhsa_kernarg_size 296
		.amdhsa_user_sgpr_count 8
		.amdhsa_user_sgpr_private_segment_buffer 1
		.amdhsa_user_sgpr_dispatch_ptr 1
		.amdhsa_user_sgpr_queue_ptr 0
		.amdhsa_user_sgpr_kernarg_segment_ptr 1
		.amdhsa_user_sgpr_dispatch_id 0
		.amdhsa_user_sgpr_flat_scratch_init 0
		.amdhsa_user_sgpr_kernarg_preload_length 0
		.amdhsa_user_sgpr_kernarg_preload_offset 0
		.amdhsa_user_sgpr_private_segment_size 0
		.amdhsa_uses_dynamic_stack 0
		.amdhsa_system_sgpr_private_segment_wavefront_offset 0
		.amdhsa_system_sgpr_workgroup_id_x 1
		.amdhsa_system_sgpr_workgroup_id_y 1
		.amdhsa_system_sgpr_workgroup_id_z 1
		.amdhsa_system_sgpr_workgroup_info 0
		.amdhsa_system_vgpr_workitem_id 2
		.amdhsa_next_free_vgpr 22
		.amdhsa_next_free_sgpr 24
		.amdhsa_accum_offset 24
		.amdhsa_reserve_vcc 1
		.amdhsa_reserve_flat_scratch 0
		.amdhsa_float_round_mode_32 0
		.amdhsa_float_round_mode_16_64 0
		.amdhsa_float_denorm_mode_32 3
		.amdhsa_float_denorm_mode_16_64 3
		.amdhsa_dx10_clamp 1
		.amdhsa_ieee_mode 1
		.amdhsa_fp16_overflow 0
		.amdhsa_tg_split 0
		.amdhsa_exception_fp_ieee_invalid_op 0
		.amdhsa_exception_fp_denorm_src 0
		.amdhsa_exception_fp_ieee_div_zero 0
		.amdhsa_exception_fp_ieee_overflow 0
		.amdhsa_exception_fp_ieee_underflow 0
		.amdhsa_exception_fp_ieee_inexact 0
		.amdhsa_exception_int_div_zero 0
	.end_amdhsa_kernel
	.section	.text._Z34scaled_masked_softmax_warp_forwardI14__hip_bfloat16S0_fLi6EEvPT0_PKT_PKhT1_iii,"axG",@progbits,_Z34scaled_masked_softmax_warp_forwardI14__hip_bfloat16S0_fLi6EEvPT0_PKT_PKhT1_iii,comdat
.Lfunc_end17:
	.size	_Z34scaled_masked_softmax_warp_forwardI14__hip_bfloat16S0_fLi6EEvPT0_PKT_PKhT1_iii, .Lfunc_end17-_Z34scaled_masked_softmax_warp_forwardI14__hip_bfloat16S0_fLi6EEvPT0_PKT_PKhT1_iii
                                        ; -- End function
	.section	.AMDGPU.csdata,"",@progbits
; Kernel info:
; codeLenInByte = 2256
; NumSgprs: 28
; NumVgprs: 22
; NumAgprs: 0
; TotalNumVgprs: 22
; ScratchSize: 0
; MemoryBound: 0
; FloatMode: 240
; IeeeMode: 1
; LDSByteSize: 16384 bytes/workgroup (compile time only)
; SGPRBlocks: 3
; VGPRBlocks: 2
; NumSGPRsForWavesPerEU: 28
; NumVGPRsForWavesPerEU: 22
; AccumOffset: 24
; Occupancy: 8
; WaveLimiterHint : 0
; COMPUTE_PGM_RSRC2:SCRATCH_EN: 0
; COMPUTE_PGM_RSRC2:USER_SGPR: 8
; COMPUTE_PGM_RSRC2:TRAP_HANDLER: 0
; COMPUTE_PGM_RSRC2:TGID_X_EN: 1
; COMPUTE_PGM_RSRC2:TGID_Y_EN: 1
; COMPUTE_PGM_RSRC2:TGID_Z_EN: 1
; COMPUTE_PGM_RSRC2:TIDIG_COMP_CNT: 2
; COMPUTE_PGM_RSRC3_GFX90A:ACCUM_OFFSET: 5
; COMPUTE_PGM_RSRC3_GFX90A:TG_SPLIT: 0
	.section	.text._Z34scaled_masked_softmax_warp_forwardI14__hip_bfloat16S0_fLi7EEvPT0_PKT_PKhT1_iii,"axG",@progbits,_Z34scaled_masked_softmax_warp_forwardI14__hip_bfloat16S0_fLi7EEvPT0_PKT_PKhT1_iii,comdat
	.protected	_Z34scaled_masked_softmax_warp_forwardI14__hip_bfloat16S0_fLi7EEvPT0_PKT_PKhT1_iii ; -- Begin function _Z34scaled_masked_softmax_warp_forwardI14__hip_bfloat16S0_fLi7EEvPT0_PKT_PKhT1_iii
	.globl	_Z34scaled_masked_softmax_warp_forwardI14__hip_bfloat16S0_fLi7EEvPT0_PKT_PKhT1_iii
	.p2align	8
	.type	_Z34scaled_masked_softmax_warp_forwardI14__hip_bfloat16S0_fLi7EEvPT0_PKT_PKhT1_iii,@function
_Z34scaled_masked_softmax_warp_forwardI14__hip_bfloat16S0_fLi7EEvPT0_PKT_PKhT1_iii: ; @_Z34scaled_masked_softmax_warp_forwardI14__hip_bfloat16S0_fLi7EEvPT0_PKT_PKhT1_iii
; %bb.0:
	s_load_dword s0, s[6:7], 0x34
	s_load_dwordx4 s[12:15], s[6:7], 0x18
	s_load_dwordx2 s[2:3], s[6:7], 0x28
	s_mov_b32 s11, s8
	s_waitcnt lgkmcnt(0)
	s_lshr_b32 s20, s0, 16
	s_cmp_eq_u32 s15, 1
	s_cbranch_scc1 .LBB18_2
; %bb.1:
	s_mul_i32 s0, s2, s10
	s_add_i32 s11, s0, s8
.LBB18_2:
	s_load_dwordx2 s[22:23], s[4:5], 0x4
	s_load_dwordx4 s[16:19], s[6:7], 0x0
	s_load_dwordx2 s[0:1], s[6:7], 0x10
	s_mul_i32 s3, s3, s10
	s_add_i32 s3, s3, s9
	s_waitcnt lgkmcnt(0)
	s_lshr_b32 s4, s22, 16
	v_and_b32_e32 v1, 0x3ff, v0
	s_mul_i32 s4, s4, s23
	s_mul_i32 s2, s2, s3
	v_bfe_u32 v2, v0, 10, 10
	v_mul_lo_u32 v3, s4, v1
	s_and_b32 s6, 0xffff, s20
	s_add_i32 s2, s2, s8
	v_mad_u32_u24 v3, v2, s23, v3
	v_bfe_u32 v0, v0, 20, 10
	s_mul_i32 s2, s2, s6
	v_add_lshl_u32 v16, v3, v0, 5
	v_add_u32_e32 v0, s2, v2
	v_lshlrev_b32_e32 v3, 1, v0
	v_sub_u32_e32 v3, s13, v3
	v_min_i32_e32 v4, 2, v3
	v_lshlrev_b32_e32 v11, 2, v1
	v_mul_lo_u32 v0, s14, v0
	v_cmp_lt_i32_e32 vcc, 0, v3
	v_max_i32_e32 v17, 1, v4
	v_lshl_add_u32 v8, v0, 1, v11
                                        ; implicit-def: $vgpr5
                                        ; implicit-def: $vgpr1
	s_and_saveexec_b64 s[4:5], vcc
	s_cbranch_execz .LBB18_10
; %bb.3:
	s_mul_i32 s2, s11, s6
	v_add_u32_e32 v0, s2, v2
	v_mul_lo_u32 v0, s14, v0
	v_lshl_add_u32 v0, v0, 1, v11
	v_ashrrev_i32_e32 v1, 31, v0
	v_mov_b32_e32 v2, s1
	v_add_co_u32_e64 v4, s[0:1], s0, v0
	v_ashrrev_i32_e32 v9, 31, v8
	v_addc_co_u32_e64 v5, s[0:1], v2, v1, s[0:1]
	v_lshlrev_b64 v[0:1], 1, v[8:9]
	s_ashr_i32 s15, s14, 31
	v_mov_b32_e32 v2, s19
	v_add_co_u32_e64 v6, s[2:3], s18, v0
	s_lshl_b64 s[8:9], s[14:15], 1
	v_cmp_le_i32_e64 s[0:1], s14, v11
	v_addc_co_u32_e64 v7, s[2:3], v2, v1, s[2:3]
	s_mov_b64 s[6:7], 0
	s_movk_i32 s13, 0xff
	v_mov_b32_e32 v3, s9
	v_mov_b32_e32 v9, s15
	;; [unrolled: 1-line block ×7, first 2 shown]
	s_branch .LBB18_5
.LBB18_4:                               ;   in Loop: Header=BB18_5 Depth=1
	s_or_b64 exec, exec, s[10:11]
	v_add_co_u32_e64 v6, s[2:3], s8, v6
	v_add_u32_e32 v13, -1, v13
	v_addc_co_u32_e64 v7, s[2:3], v7, v3, s[2:3]
	v_cmp_eq_u32_e64 s[2:3], 0, v13
	s_or_b64 s[6:7], s[2:3], s[6:7]
	v_add_co_u32_e64 v4, s[2:3], s14, v4
	ds_write_b32 v14, v1 offset:12
	v_add_u32_e32 v14, 16, v14
	v_addc_co_u32_e64 v5, s[2:3], v5, v9, s[2:3]
	s_andn2_b64 exec, exec, s[6:7]
	s_cbranch_execz .LBB18_9
.LBB18_5:                               ; =>This Inner Loop Header: Depth=1
                                        ; implicit-def: $sgpr9
	s_and_saveexec_b64 s[2:3], s[0:1]
	s_xor_b64 s[2:3], exec, s[2:3]
	s_cbranch_execz .LBB18_7
; %bb.6:                                ;   in Loop: Header=BB18_5 Depth=1
	v_mov_b32_e32 v1, v0
	v_mov_b32_e32 v2, v0
	s_mov_b32 s9, 0xff800000
	ds_write_b96 v14, v[0:2]
.LBB18_7:                               ;   in Loop: Header=BB18_5 Depth=1
	s_or_saveexec_b64 s[10:11], s[2:3]
	v_mov_b32_e32 v1, s9
	s_xor_b64 exec, exec, s[10:11]
	s_cbranch_execz .LBB18_4
; %bb.8:                                ;   in Loop: Header=BB18_5 Depth=1
	global_load_dwordx2 v[18:19], v[6:7], off
	global_load_dword v1, v[4:5], off
	s_waitcnt vmcnt(1)
	v_lshlrev_b32_e32 v15, 16, v18
	v_and_b32_e32 v2, 0xffff0000, v18
	s_waitcnt vmcnt(0)
	v_lshrrev_b32_e32 v20, 8, v1
	v_alignbit_b32 v18, v19, v18, 16
	v_mul_f32_e32 v15, s12, v15
	v_cmp_ne_u16_sdwa s[2:3], v1, v10 src0_sel:BYTE_0 src1_sel:DWORD
	v_and_b32_sdwa v21, v1, s13 dst_sel:DWORD dst_unused:UNUSED_PAD src0_sel:WORD_1 src1_sel:DWORD
	v_and_b32_e32 v19, 0xffff0000, v19
	v_mul_f32_e32 v2, s12, v2
	v_and_b32_e32 v22, 0xffff0000, v18
	v_cndmask_b32_e64 v18, v12, v15, s[2:3]
	v_cmp_ne_u16_sdwa s[2:3], v20, v10 src0_sel:BYTE_0 src1_sel:DWORD
	v_mul_f32_e32 v23, s12, v19
	v_cndmask_b32_e64 v19, v12, v2, s[2:3]
	v_mul_f32_e32 v2, s12, v22
	v_cmp_ne_u16_e64 s[2:3], 1, v21
	v_cndmask_b32_e64 v20, v12, v2, s[2:3]
	v_cmp_ne_u16_sdwa s[2:3], v1, v10 src0_sel:BYTE_3 src1_sel:DWORD
	v_cndmask_b32_e64 v1, v12, v23, s[2:3]
	ds_write_b96 v14, v[18:20]
	s_branch .LBB18_4
.LBB18_9:
	s_or_b64 exec, exec, s[6:7]
	ds_read_b128 v[4:7], v16
	ds_read_b128 v[0:3], v16 offset:16
.LBB18_10:
	s_or_b64 exec, exec, s[4:5]
	s_waitcnt lgkmcnt(1)
	v_cmp_gt_f32_e64 s[0:1], v4, v5
	v_cndmask_b32_e64 v4, v5, v4, s[0:1]
	v_cmp_gt_f32_e64 s[0:1], v4, v6
	v_cndmask_b32_e64 v4, v6, v4, s[0:1]
	v_cmp_gt_f32_e64 s[0:1], v4, v7
	v_cndmask_b32_e64 v4, v7, v4, s[0:1]
	s_waitcnt lgkmcnt(0)
	v_cmp_gt_f32_e64 s[0:1], v0, v1
	v_cndmask_b32_e64 v0, v1, v0, s[0:1]
	v_cmp_gt_f32_e64 s[0:1], v0, v2
	v_mbcnt_lo_u32_b32 v1, -1, 0
	v_cndmask_b32_e64 v0, v2, v0, s[0:1]
	v_mbcnt_hi_u32_b32 v1, -1, v1
	v_cmp_gt_f32_e64 s[0:1], v0, v3
	v_and_b32_e32 v2, 0x60, v1
	v_cndmask_b32_e64 v0, v3, v0, s[0:1]
	v_add_u32_e32 v2, 32, v2
	v_xor_b32_e32 v3, 16, v1
	v_cmp_lt_i32_e64 s[0:1], v3, v2
	v_xor_b32_e32 v6, 8, v1
	v_cndmask_b32_e64 v3, v1, v3, s[0:1]
	v_cmp_lt_i32_e64 s[0:1], v6, v2
	v_lshlrev_b32_e32 v9, 2, v3
	v_cndmask_b32_e64 v6, v1, v6, s[0:1]
	ds_bpermute_b32 v3, v9, v4
	v_lshlrev_b32_e32 v13, 2, v6
	v_xor_b32_e32 v6, 4, v1
	v_cmp_lt_i32_e64 s[0:1], v6, v2
	v_cndmask_b32_e64 v6, v1, v6, s[0:1]
	ds_bpermute_b32 v5, v9, v0
	v_lshlrev_b32_e32 v18, 2, v6
	v_xor_b32_e32 v6, 2, v1
	v_cmp_lt_i32_e64 s[0:1], v6, v2
	v_cndmask_b32_e64 v6, v1, v6, s[0:1]
	s_waitcnt lgkmcnt(1)
	v_cmp_lt_f32_e64 s[0:1], v4, v3
	v_cndmask_b32_e64 v3, v4, v3, s[0:1]
	ds_bpermute_b32 v4, v13, v3
	s_waitcnt lgkmcnt(1)
	v_cmp_lt_f32_e64 s[0:1], v0, v5
	v_cndmask_b32_e64 v0, v0, v5, s[0:1]
	ds_bpermute_b32 v5, v13, v0
	v_lshlrev_b32_e32 v19, 2, v6
	s_waitcnt lgkmcnt(1)
	v_cmp_lt_f32_e64 s[0:1], v3, v4
	v_cndmask_b32_e64 v3, v3, v4, s[0:1]
	ds_bpermute_b32 v4, v18, v3
	s_waitcnt lgkmcnt(1)
	v_cmp_lt_f32_e64 s[0:1], v0, v5
	v_cndmask_b32_e64 v0, v0, v5, s[0:1]
	v_xor_b32_e32 v6, 1, v1
	ds_bpermute_b32 v5, v18, v0
	v_cmp_lt_i32_e64 s[0:1], v6, v2
	v_cndmask_b32_e64 v1, v1, v6, s[0:1]
	s_waitcnt lgkmcnt(1)
	v_cmp_lt_f32_e64 s[0:1], v3, v4
	v_cndmask_b32_e64 v2, v3, v4, s[0:1]
	ds_bpermute_b32 v3, v19, v2
	s_waitcnt lgkmcnt(1)
	v_cmp_lt_f32_e64 s[0:1], v0, v5
	v_cndmask_b32_e64 v0, v0, v5, s[0:1]
	ds_bpermute_b32 v4, v19, v0
	v_lshlrev_b32_e32 v20, 2, v1
	s_waitcnt lgkmcnt(1)
	v_cmp_lt_f32_e64 s[0:1], v2, v3
	v_cndmask_b32_e64 v5, v2, v3, s[0:1]
	ds_bpermute_b32 v6, v20, v5
	s_waitcnt lgkmcnt(1)
	v_cmp_lt_f32_e64 s[0:1], v0, v4
	v_cndmask_b32_e64 v12, v0, v4, s[0:1]
	ds_read_b128 v[0:3], v16
	s_mov_b32 s2, 0x3fb8aa3b
	s_waitcnt lgkmcnt(1)
	v_cmp_lt_f32_e64 s[0:1], v5, v6
	v_cndmask_b32_e64 v10, v5, v6, s[0:1]
	ds_read_b128 v[4:7], v16 offset:16
	s_waitcnt lgkmcnt(1)
	v_pk_add_f32 v[0:1], v[0:1], v[10:11] op_sel_hi:[1,0] neg_lo:[0,1] neg_hi:[0,1]
	v_mul_f32_e32 v15, 0x3fb8aa3b, v1
	v_fma_f32 v21, v1, s2, -v15
	v_rndne_f32_e32 v22, v15
	ds_bpermute_b32 v14, v20, v12
	v_fmac_f32_e32 v21, 0x32a5705f, v1
	v_sub_f32_e32 v15, v15, v22
	v_add_f32_e32 v15, v15, v21
	v_exp_f32_e32 v15, v15
	v_cvt_i32_f32_e32 v21, v22
	s_waitcnt lgkmcnt(0)
	v_cmp_lt_f32_e64 s[0:1], v12, v14
	v_cndmask_b32_e64 v12, v12, v14, s[0:1]
	s_mov_b32 s3, 0xc2ce8ed0
	v_ldexp_f32 v14, v15, v21
	v_mul_f32_e32 v15, 0x3fb8aa3b, v0
	v_fma_f32 v21, v0, s2, -v15
	v_rndne_f32_e32 v22, v15
	v_fmac_f32_e32 v21, 0x32a5705f, v0
	v_sub_f32_e32 v15, v15, v22
	v_add_f32_e32 v15, v15, v21
	v_exp_f32_e32 v15, v15
	v_cvt_i32_f32_e32 v21, v22
	v_cmp_ngt_f32_e64 s[0:1], s3, v1
	s_mov_b32 s4, 0x42b17218
	v_cndmask_b32_e64 v14, 0, v14, s[0:1]
	v_mov_b32_e32 v22, 0x7f800000
	v_cmp_nlt_f32_e64 s[0:1], s4, v1
	v_pk_add_f32 v[2:3], v[2:3], v[10:11] op_sel_hi:[1,0] neg_lo:[0,1] neg_hi:[0,1]
	v_cndmask_b32_e64 v1, v22, v14, s[0:1]
	v_ldexp_f32 v14, v15, v21
	v_mul_f32_e32 v15, 0x3fb8aa3b, v3
	v_fma_f32 v21, v3, s2, -v15
	v_rndne_f32_e32 v23, v15
	v_fmac_f32_e32 v21, 0x32a5705f, v3
	v_sub_f32_e32 v15, v15, v23
	v_add_f32_e32 v15, v15, v21
	v_exp_f32_e32 v15, v15
	v_cvt_i32_f32_e32 v21, v23
	v_cmp_ngt_f32_e64 s[0:1], s3, v0
	v_cndmask_b32_e64 v14, 0, v14, s[0:1]
	v_cmp_nlt_f32_e64 s[0:1], s4, v0
	v_cndmask_b32_e64 v0, v22, v14, s[0:1]
	v_ldexp_f32 v14, v15, v21
	v_mul_f32_e32 v15, 0x3fb8aa3b, v2
	v_fma_f32 v21, v2, s2, -v15
	v_rndne_f32_e32 v23, v15
	v_fmac_f32_e32 v21, 0x32a5705f, v2
	v_sub_f32_e32 v15, v15, v23
	v_add_f32_e32 v15, v15, v21
	v_exp_f32_e32 v15, v15
	v_cvt_i32_f32_e32 v21, v23
	v_cmp_ngt_f32_e64 s[0:1], s3, v3
	v_cndmask_b32_e64 v14, 0, v14, s[0:1]
	v_cmp_nlt_f32_e64 s[0:1], s4, v3
	v_pk_add_f32 v[4:5], v[4:5], v[12:13] op_sel_hi:[1,0] neg_lo:[0,1] neg_hi:[0,1]
	v_cndmask_b32_e64 v3, v22, v14, s[0:1]
	v_ldexp_f32 v14, v15, v21
	v_mul_f32_e32 v15, 0x3fb8aa3b, v5
	v_fma_f32 v21, v5, s2, -v15
	v_rndne_f32_e32 v23, v15
	v_fmac_f32_e32 v21, 0x32a5705f, v5
	v_sub_f32_e32 v15, v15, v23
	v_add_f32_e32 v15, v15, v21
	v_exp_f32_e32 v15, v15
	v_cvt_i32_f32_e32 v21, v23
	v_cmp_ngt_f32_e64 s[0:1], s3, v2
	v_cndmask_b32_e64 v14, 0, v14, s[0:1]
	v_cmp_nlt_f32_e64 s[0:1], s4, v2
	v_cndmask_b32_e64 v2, v22, v14, s[0:1]
	v_ldexp_f32 v14, v15, v21
	v_mul_f32_e32 v15, 0x3fb8aa3b, v4
	v_fma_f32 v21, v4, s2, -v15
	v_rndne_f32_e32 v23, v15
	v_fmac_f32_e32 v21, 0x32a5705f, v4
	v_sub_f32_e32 v15, v15, v23
	v_add_f32_e32 v15, v15, v21
	v_exp_f32_e32 v15, v15
	v_cvt_i32_f32_e32 v21, v23
	v_cmp_ngt_f32_e64 s[0:1], s3, v5
	v_cndmask_b32_e64 v14, 0, v14, s[0:1]
	;; [unrolled: 27-line block ×3, first 2 shown]
	v_cmp_nlt_f32_e64 s[0:1], s4, v7
	v_cndmask_b32_e64 v7, v22, v14, s[0:1]
	v_ldexp_f32 v14, v15, v21
	v_cmp_ngt_f32_e64 s[0:1], s3, v6
	v_cndmask_b32_e64 v14, 0, v14, s[0:1]
	v_cmp_nlt_f32_e64 s[0:1], s4, v6
	v_cndmask_b32_e64 v6, v22, v14, s[0:1]
	ds_write_b128 v16, v[4:7] offset:16
	v_mov_b32_e32 v14, v0
	v_mov_b32_e32 v15, v4
	;; [unrolled: 1-line block ×3, first 2 shown]
	v_pk_add_f32 v[4:5], v[14:15], v[4:5]
	v_mov_b32_e32 v14, v2
	v_mov_b32_e32 v15, v6
	v_pk_add_f32 v[4:5], v[4:5], v[14:15]
	v_mov_b32_e32 v6, v3
	v_pk_add_f32 v[4:5], v[4:5], v[6:7]
	ds_bpermute_b32 v6, v9, v4
	ds_bpermute_b32 v7, v9, v5
	s_mov_b32 s18, 0x7f800000
	ds_write_b128 v16, v[0:3]
	s_waitcnt lgkmcnt(1)
	v_pk_add_f32 v[4:5], v[4:5], v[6:7]
	ds_bpermute_b32 v6, v13, v4
	ds_bpermute_b32 v7, v13, v5
	s_waitcnt lgkmcnt(0)
	v_pk_add_f32 v[4:5], v[4:5], v[6:7]
	ds_bpermute_b32 v6, v18, v4
	ds_bpermute_b32 v7, v18, v5
	;; [unrolled: 4-line block ×4, first 2 shown]
	s_and_saveexec_b64 s[0:1], vcc
	s_cbranch_execz .LBB18_39
; %bb.11:
	s_mov_b32 s0, 0xc61c4000
	v_cmp_eq_f32_e32 vcc, s0, v12
	v_ashrrev_i32_e32 v9, 31, v8
	v_cndmask_b32_e64 v1, 1.0, 0, vcc
	v_cmp_eq_f32_e32 vcc, s0, v10
	s_waitcnt lgkmcnt(0)
	v_pk_add_f32 v[2:3], v[4:5], v[6:7]
	v_lshlrev_b64 v[4:5], 1, v[8:9]
	v_cndmask_b32_e64 v0, 1.0, 0, vcc
	v_mov_b32_e32 v6, s17
	v_add_co_u32_e32 v4, vcc, s16, v4
	s_ashr_i32 s15, s14, 31
	v_cmp_gt_i32_e64 s[0:1], s14, v11
	v_addc_co_u32_e32 v5, vcc, v6, v5, vcc
	s_lshl_b64 s[4:5], s[14:15], 1
	s_mov_b64 s[6:7], 0
	s_movk_i32 s16, 0x7fff
	v_mov_b32_e32 v7, 0
	s_mov_b64 s[8:9], 0
	s_branch .LBB18_15
.LBB18_12:                              ;   in Loop: Header=BB18_15 Depth=1
	s_or_b64 exec, exec, s[2:3]
	v_lshrrev_b32_e32 v14, 16, v11
.LBB18_13:                              ;   in Loop: Header=BB18_15 Depth=1
	s_or_b64 exec, exec, s[12:13]
	v_lshlrev_b32_e32 v6, 16, v14
	v_mov_b32_e32 v11, v12
	v_or_b32_e32 v6, v6, v11
	v_lshlrev_b32_e32 v10, 16, v10
	v_or_b32_e32 v9, v6, v9
	v_or_b32_e32 v8, v10, v8
	global_store_dwordx2 v[4:5], v[8:9], off
.LBB18_14:                              ;   in Loop: Header=BB18_15 Depth=1
	s_or_b64 exec, exec, s[10:11]
	s_add_u32 s8, s8, 1
	s_addc_u32 s9, s9, 0
	v_cmp_eq_u32_e32 vcc, s8, v17
	v_mov_b32_e32 v6, s5
	s_or_b64 s[6:7], vcc, s[6:7]
	v_add_co_u32_e32 v4, vcc, s4, v4
	v_add_u32_e32 v16, 16, v16
	v_addc_co_u32_e32 v5, vcc, v5, v6, vcc
	s_andn2_b64 exec, exec, s[6:7]
	s_cbranch_execz .LBB18_39
.LBB18_15:                              ; =>This Inner Loop Header: Depth=1
	s_and_saveexec_b64 s[10:11], s[0:1]
	s_cbranch_execz .LBB18_14
; %bb.16:                               ;   in Loop: Header=BB18_15 Depth=1
	s_cmp_eq_u32 s8, 1
	s_cselect_b64 vcc, -1, 0
	v_cndmask_b32_e32 v6, v0, v1, vcc
	v_cmp_neq_f32_e64 s[2:3], 0, v6
	v_cndmask_b32_e32 v18, v2, v3, vcc
	v_pk_mov_b32 v[8:9], 0, 0
	s_and_saveexec_b64 s[12:13], s[2:3]
	s_cbranch_execnz .LBB18_20
; %bb.17:                               ;   in Loop: Header=BB18_15 Depth=1
	s_or_b64 exec, exec, s[12:13]
	v_pk_mov_b32 v[10:11], 0, 0
	s_and_saveexec_b64 s[12:13], s[2:3]
	s_cbranch_execnz .LBB18_25
.LBB18_18:                              ;   in Loop: Header=BB18_15 Depth=1
	s_or_b64 exec, exec, s[12:13]
	v_pk_mov_b32 v[12:13], 0, 0
	s_and_saveexec_b64 s[12:13], s[2:3]
	s_cbranch_execnz .LBB18_30
.LBB18_19:                              ;   in Loop: Header=BB18_15 Depth=1
	s_or_b64 exec, exec, s[12:13]
	v_pk_mov_b32 v[14:15], 0, 0
	s_and_saveexec_b64 s[12:13], s[2:3]
	s_cbranch_execz .LBB18_13
	s_branch .LBB18_35
.LBB18_20:                              ;   in Loop: Header=BB18_15 Depth=1
	ds_read_b32 v6, v16
	s_waitcnt lgkmcnt(0)
	v_div_scale_f32 v8, s[14:15], v18, v18, v6
	v_rcp_f32_e32 v9, v8
	v_div_scale_f32 v10, vcc, v6, v18, v6
	v_fma_f32 v11, -v8, v9, 1.0
	v_fmac_f32_e32 v9, v11, v9
	v_mul_f32_e32 v11, v10, v9
	v_fma_f32 v12, -v8, v11, v10
	v_fmac_f32_e32 v11, v12, v9
	v_fma_f32 v8, -v8, v11, v10
	v_div_fmas_f32 v8, v8, v9, v11
	v_div_fixup_f32 v6, v8, v18, v6
	v_and_b32_e32 v8, 0x7f800000, v6
	v_cmp_ne_u32_e32 vcc, s18, v8
                                        ; implicit-def: $vgpr8
	s_and_saveexec_b64 s[14:15], vcc
	s_xor_b64 s[14:15], exec, s[14:15]
; %bb.21:                               ;   in Loop: Header=BB18_15 Depth=1
	v_bfe_u32 v8, v6, 16, 1
	v_add3_u32 v8, v6, v8, s16
                                        ; implicit-def: $vgpr6
; %bb.22:                               ;   in Loop: Header=BB18_15 Depth=1
	s_andn2_saveexec_b64 s[14:15], s[14:15]
; %bb.23:                               ;   in Loop: Header=BB18_15 Depth=1
	v_or_b32_e32 v8, 0x10000, v6
	v_cmp_eq_u32_sdwa vcc, v6, v7 src0_sel:WORD_0 src1_sel:DWORD
	v_cndmask_b32_e32 v8, v8, v6, vcc
; %bb.24:                               ;   in Loop: Header=BB18_15 Depth=1
	s_or_b64 exec, exec, s[14:15]
	v_lshrrev_b32_e32 v6, 16, v8
	v_pk_mov_b32 v[8:9], v[6:7], v[6:7] op_sel:[0,1]
	s_or_b64 exec, exec, s[12:13]
	v_pk_mov_b32 v[10:11], 0, 0
	s_and_saveexec_b64 s[12:13], s[2:3]
	s_cbranch_execz .LBB18_18
.LBB18_25:                              ;   in Loop: Header=BB18_15 Depth=1
	ds_read_b32 v6, v16 offset:4
	s_waitcnt lgkmcnt(0)
	v_div_scale_f32 v10, s[14:15], v18, v18, v6
	v_rcp_f32_e32 v11, v10
	v_div_scale_f32 v12, vcc, v6, v18, v6
	v_fma_f32 v13, -v10, v11, 1.0
	v_fmac_f32_e32 v11, v13, v11
	v_mul_f32_e32 v13, v12, v11
	v_fma_f32 v14, -v10, v13, v12
	v_fmac_f32_e32 v13, v14, v11
	v_fma_f32 v10, -v10, v13, v12
	v_div_fmas_f32 v10, v10, v11, v13
	v_div_fixup_f32 v6, v10, v18, v6
	v_and_b32_e32 v10, 0x7f800000, v6
	v_cmp_ne_u32_e32 vcc, s18, v10
                                        ; implicit-def: $vgpr10
	s_and_saveexec_b64 s[14:15], vcc
	s_xor_b64 s[14:15], exec, s[14:15]
; %bb.26:                               ;   in Loop: Header=BB18_15 Depth=1
	v_bfe_u32 v10, v6, 16, 1
	v_add3_u32 v10, v6, v10, s16
                                        ; implicit-def: $vgpr6
; %bb.27:                               ;   in Loop: Header=BB18_15 Depth=1
	s_andn2_saveexec_b64 s[14:15], s[14:15]
; %bb.28:                               ;   in Loop: Header=BB18_15 Depth=1
	v_or_b32_e32 v10, 0x10000, v6
	v_cmp_eq_u32_sdwa vcc, v6, v7 src0_sel:WORD_0 src1_sel:DWORD
	v_cndmask_b32_e32 v10, v10, v6, vcc
; %bb.29:                               ;   in Loop: Header=BB18_15 Depth=1
	s_or_b64 exec, exec, s[14:15]
	v_lshrrev_b32_e32 v10, 16, v10
	s_or_b64 exec, exec, s[12:13]
	v_pk_mov_b32 v[12:13], 0, 0
	s_and_saveexec_b64 s[12:13], s[2:3]
	s_cbranch_execz .LBB18_19
.LBB18_30:                              ;   in Loop: Header=BB18_15 Depth=1
	ds_read_b32 v6, v16 offset:8
	s_waitcnt lgkmcnt(0)
	v_div_scale_f32 v11, s[14:15], v18, v18, v6
	v_rcp_f32_e32 v12, v11
	v_div_scale_f32 v13, vcc, v6, v18, v6
	v_fma_f32 v14, -v11, v12, 1.0
	v_fmac_f32_e32 v12, v14, v12
	v_mul_f32_e32 v14, v13, v12
	v_fma_f32 v15, -v11, v14, v13
	v_fmac_f32_e32 v14, v15, v12
	v_fma_f32 v11, -v11, v14, v13
	v_div_fmas_f32 v11, v11, v12, v14
	v_div_fixup_f32 v6, v11, v18, v6
	v_and_b32_e32 v11, 0x7f800000, v6
	v_cmp_ne_u32_e32 vcc, s18, v11
                                        ; implicit-def: $vgpr11
	s_and_saveexec_b64 s[14:15], vcc
	s_xor_b64 s[14:15], exec, s[14:15]
; %bb.31:                               ;   in Loop: Header=BB18_15 Depth=1
	v_bfe_u32 v11, v6, 16, 1
	v_add3_u32 v11, v6, v11, s16
                                        ; implicit-def: $vgpr6
; %bb.32:                               ;   in Loop: Header=BB18_15 Depth=1
	s_andn2_saveexec_b64 s[14:15], s[14:15]
; %bb.33:                               ;   in Loop: Header=BB18_15 Depth=1
	v_or_b32_e32 v11, 0x10000, v6
	v_cmp_eq_u32_sdwa vcc, v6, v7 src0_sel:WORD_0 src1_sel:DWORD
	v_cndmask_b32_e32 v11, v11, v6, vcc
; %bb.34:                               ;   in Loop: Header=BB18_15 Depth=1
	s_or_b64 exec, exec, s[14:15]
	v_lshrrev_b32_e32 v12, 16, v11
	s_or_b64 exec, exec, s[12:13]
	v_pk_mov_b32 v[14:15], 0, 0
	s_and_saveexec_b64 s[12:13], s[2:3]
	s_cbranch_execz .LBB18_13
.LBB18_35:                              ;   in Loop: Header=BB18_15 Depth=1
	ds_read_b32 v6, v16 offset:12
	s_waitcnt lgkmcnt(0)
	v_div_scale_f32 v11, s[2:3], v18, v18, v6
	v_rcp_f32_e32 v13, v11
	v_div_scale_f32 v14, vcc, v6, v18, v6
	v_fma_f32 v15, -v11, v13, 1.0
	v_fmac_f32_e32 v13, v15, v13
	v_mul_f32_e32 v15, v14, v13
	v_fma_f32 v19, -v11, v15, v14
	v_fmac_f32_e32 v15, v19, v13
	v_fma_f32 v11, -v11, v15, v14
	v_div_fmas_f32 v11, v11, v13, v15
	v_div_fixup_f32 v6, v11, v18, v6
	v_and_b32_e32 v11, 0x7f800000, v6
	v_cmp_ne_u32_e32 vcc, s18, v11
                                        ; implicit-def: $vgpr11
	s_and_saveexec_b64 s[2:3], vcc
	s_xor_b64 s[2:3], exec, s[2:3]
; %bb.36:                               ;   in Loop: Header=BB18_15 Depth=1
	v_bfe_u32 v11, v6, 16, 1
	v_add3_u32 v11, v6, v11, s16
                                        ; implicit-def: $vgpr6
; %bb.37:                               ;   in Loop: Header=BB18_15 Depth=1
	s_andn2_saveexec_b64 s[2:3], s[2:3]
	s_cbranch_execz .LBB18_12
; %bb.38:                               ;   in Loop: Header=BB18_15 Depth=1
	v_or_b32_e32 v11, 0x10000, v6
	v_cmp_eq_u32_sdwa vcc, v6, v7 src0_sel:WORD_0 src1_sel:DWORD
	v_cndmask_b32_e32 v11, v11, v6, vcc
	s_branch .LBB18_12
.LBB18_39:
	s_endpgm
	.section	.rodata,"a",@progbits
	.p2align	6, 0x0
	.amdhsa_kernel _Z34scaled_masked_softmax_warp_forwardI14__hip_bfloat16S0_fLi7EEvPT0_PKT_PKhT1_iii
		.amdhsa_group_segment_fixed_size 32768
		.amdhsa_private_segment_fixed_size 0
		.amdhsa_kernarg_size 296
		.amdhsa_user_sgpr_count 8
		.amdhsa_user_sgpr_private_segment_buffer 1
		.amdhsa_user_sgpr_dispatch_ptr 1
		.amdhsa_user_sgpr_queue_ptr 0
		.amdhsa_user_sgpr_kernarg_segment_ptr 1
		.amdhsa_user_sgpr_dispatch_id 0
		.amdhsa_user_sgpr_flat_scratch_init 0
		.amdhsa_user_sgpr_kernarg_preload_length 0
		.amdhsa_user_sgpr_kernarg_preload_offset 0
		.amdhsa_user_sgpr_private_segment_size 0
		.amdhsa_uses_dynamic_stack 0
		.amdhsa_system_sgpr_private_segment_wavefront_offset 0
		.amdhsa_system_sgpr_workgroup_id_x 1
		.amdhsa_system_sgpr_workgroup_id_y 1
		.amdhsa_system_sgpr_workgroup_id_z 1
		.amdhsa_system_sgpr_workgroup_info 0
		.amdhsa_system_vgpr_workitem_id 2
		.amdhsa_next_free_vgpr 24
		.amdhsa_next_free_sgpr 24
		.amdhsa_accum_offset 24
		.amdhsa_reserve_vcc 1
		.amdhsa_reserve_flat_scratch 0
		.amdhsa_float_round_mode_32 0
		.amdhsa_float_round_mode_16_64 0
		.amdhsa_float_denorm_mode_32 3
		.amdhsa_float_denorm_mode_16_64 3
		.amdhsa_dx10_clamp 1
		.amdhsa_ieee_mode 1
		.amdhsa_fp16_overflow 0
		.amdhsa_tg_split 0
		.amdhsa_exception_fp_ieee_invalid_op 0
		.amdhsa_exception_fp_denorm_src 0
		.amdhsa_exception_fp_ieee_div_zero 0
		.amdhsa_exception_fp_ieee_overflow 0
		.amdhsa_exception_fp_ieee_underflow 0
		.amdhsa_exception_fp_ieee_inexact 0
		.amdhsa_exception_int_div_zero 0
	.end_amdhsa_kernel
	.section	.text._Z34scaled_masked_softmax_warp_forwardI14__hip_bfloat16S0_fLi7EEvPT0_PKT_PKhT1_iii,"axG",@progbits,_Z34scaled_masked_softmax_warp_forwardI14__hip_bfloat16S0_fLi7EEvPT0_PKT_PKhT1_iii,comdat
.Lfunc_end18:
	.size	_Z34scaled_masked_softmax_warp_forwardI14__hip_bfloat16S0_fLi7EEvPT0_PKT_PKhT1_iii, .Lfunc_end18-_Z34scaled_masked_softmax_warp_forwardI14__hip_bfloat16S0_fLi7EEvPT0_PKT_PKhT1_iii
                                        ; -- End function
	.section	.AMDGPU.csdata,"",@progbits
; Kernel info:
; codeLenInByte = 3152
; NumSgprs: 28
; NumVgprs: 24
; NumAgprs: 0
; TotalNumVgprs: 24
; ScratchSize: 0
; MemoryBound: 0
; FloatMode: 240
; IeeeMode: 1
; LDSByteSize: 32768 bytes/workgroup (compile time only)
; SGPRBlocks: 3
; VGPRBlocks: 2
; NumSGPRsForWavesPerEU: 28
; NumVGPRsForWavesPerEU: 24
; AccumOffset: 24
; Occupancy: 8
; WaveLimiterHint : 0
; COMPUTE_PGM_RSRC2:SCRATCH_EN: 0
; COMPUTE_PGM_RSRC2:USER_SGPR: 8
; COMPUTE_PGM_RSRC2:TRAP_HANDLER: 0
; COMPUTE_PGM_RSRC2:TGID_X_EN: 1
; COMPUTE_PGM_RSRC2:TGID_Y_EN: 1
; COMPUTE_PGM_RSRC2:TGID_Z_EN: 1
; COMPUTE_PGM_RSRC2:TIDIG_COMP_CNT: 2
; COMPUTE_PGM_RSRC3_GFX90A:ACCUM_OFFSET: 5
; COMPUTE_PGM_RSRC3_GFX90A:TG_SPLIT: 0
	.section	.text._Z34scaled_masked_softmax_warp_forwardI14__hip_bfloat16S0_fLi8EEvPT0_PKT_PKhT1_iii,"axG",@progbits,_Z34scaled_masked_softmax_warp_forwardI14__hip_bfloat16S0_fLi8EEvPT0_PKT_PKhT1_iii,comdat
	.protected	_Z34scaled_masked_softmax_warp_forwardI14__hip_bfloat16S0_fLi8EEvPT0_PKT_PKhT1_iii ; -- Begin function _Z34scaled_masked_softmax_warp_forwardI14__hip_bfloat16S0_fLi8EEvPT0_PKT_PKhT1_iii
	.globl	_Z34scaled_masked_softmax_warp_forwardI14__hip_bfloat16S0_fLi8EEvPT0_PKT_PKhT1_iii
	.p2align	8
	.type	_Z34scaled_masked_softmax_warp_forwardI14__hip_bfloat16S0_fLi8EEvPT0_PKT_PKhT1_iii,@function
_Z34scaled_masked_softmax_warp_forwardI14__hip_bfloat16S0_fLi8EEvPT0_PKT_PKhT1_iii: ; @_Z34scaled_masked_softmax_warp_forwardI14__hip_bfloat16S0_fLi8EEvPT0_PKT_PKhT1_iii
; %bb.0:
	s_load_dword s2, s[4:5], 0x34
	s_load_dwordx4 s[12:15], s[4:5], 0x18
	s_load_dwordx2 s[0:1], s[4:5], 0x28
	s_mov_b32 s9, s6
	s_waitcnt lgkmcnt(0)
	s_lshr_b32 s2, s2, 16
	s_cmp_eq_u32 s15, 1
	s_cbranch_scc1 .LBB19_2
; %bb.1:
	s_mul_i32 s3, s0, s8
	s_add_i32 s9, s3, s6
.LBB19_2:
	s_mul_i32 s1, s1, s8
	s_add_i32 s1, s1, s7
	s_mul_i32 s0, s0, s1
	s_load_dwordx4 s[16:19], s[4:5], 0x0
	s_load_dwordx2 s[10:11], s[4:5], 0x10
	s_and_b32 s4, 0xffff, s2
	s_add_i32 s0, s0, s6
	s_mul_i32 s0, s0, s4
	v_bfe_u32 v4, v0, 10, 10
	v_and_b32_e32 v0, 0x3ff, v0
	v_add_u32_e32 v1, s0, v4
	v_lshlrev_b32_e32 v0, 2, v0
	v_mad_u64_u32 v[2:3], s[0:1], v1, s14, v[0:1]
	v_ashrrev_i32_e32 v3, 31, v2
	v_cmp_gt_i32_e32 vcc, s13, v1
	v_lshlrev_b64 v[2:3], 1, v[2:3]
                                        ; implicit-def: $vgpr14
                                        ; implicit-def: $vgpr11
                                        ; implicit-def: $vgpr10
                                        ; implicit-def: $vgpr9
                                        ; implicit-def: $vgpr1
                                        ; implicit-def: $vgpr13
                                        ; implicit-def: $vgpr12
                                        ; implicit-def: $vgpr8
	s_and_saveexec_b64 s[2:3], vcc
	s_cbranch_execz .LBB19_8
; %bb.3:
	s_mul_i32 s0, s9, s4
	v_add_u32_e32 v1, s0, v4
	s_waitcnt lgkmcnt(0)
	v_mov_b32_e32 v5, s19
	v_add_co_u32_e64 v4, s[0:1], s18, v2
	v_addc_co_u32_e64 v5, s[0:1], v5, v3, s[0:1]
	v_mad_u64_u32 v[6:7], s[0:1], v1, s14, v[0:1]
	v_ashrrev_i32_e32 v1, 31, v6
	v_mov_b32_e32 v7, s11
	v_add_co_u32_e64 v6, s[0:1], s10, v6
	v_addc_co_u32_e64 v7, s[0:1], v7, v1, s[0:1]
	v_cmp_gt_i32_e64 s[0:1], s14, v0
	v_mov_b32_e32 v1, 0xff800000
	v_mov_b32_e32 v9, 0xff800000
	;; [unrolled: 1-line block ×5, first 2 shown]
	s_and_saveexec_b64 s[4:5], s[0:1]
	s_cbranch_execz .LBB19_5
; %bb.4:
	global_load_dwordx2 v[8:9], v[4:5], off
	global_load_dword v12, v[6:7], off
	s_movk_i32 s0, 0xff
	v_mov_b32_e32 v13, 1
	v_mov_b32_e32 v15, 0xc61c4000
	s_waitcnt vmcnt(1)
	v_lshlrev_b32_e32 v14, 16, v8
	v_and_b32_e32 v10, 0xffff0000, v8
	s_waitcnt vmcnt(0)
	v_lshrrev_b32_e32 v11, 8, v12
	v_and_b32_sdwa v16, v12, s0 dst_sel:DWORD dst_unused:UNUSED_PAD src0_sel:WORD_1 src1_sel:DWORD
	v_alignbit_b32 v8, v9, v8, 16
	v_mul_f32_e32 v14, s12, v14
	v_cmp_ne_u16_sdwa s[0:1], v12, v13 src0_sel:BYTE_0 src1_sel:DWORD
	v_mul_f32_e32 v10, s12, v10
	v_and_b32_e32 v8, 0xffff0000, v8
	v_cndmask_b32_e64 v14, v15, v14, s[0:1]
	v_cmp_ne_u16_sdwa s[0:1], v11, v13 src0_sel:BYTE_0 src1_sel:DWORD
	v_and_b32_e32 v9, 0xffff0000, v9
	v_cndmask_b32_e64 v11, v15, v10, s[0:1]
	v_mul_f32_e32 v8, s12, v8
	v_cmp_ne_u16_e64 s[0:1], 1, v16
	v_mul_f32_e32 v9, s12, v9
	v_cndmask_b32_e64 v10, v15, v8, s[0:1]
	v_cmp_ne_u16_sdwa s[0:1], v12, v13 src0_sel:BYTE_3 src1_sel:DWORD
	v_cndmask_b32_e64 v9, v15, v9, s[0:1]
.LBB19_5:
	s_or_b64 exec, exec, s[4:5]
	v_add_u32_e32 v8, 0x80, v0
	v_cmp_gt_i32_e64 s[0:1], s14, v8
	v_mov_b32_e32 v13, 0xff800000
	v_mov_b32_e32 v12, 0xff800000
	;; [unrolled: 1-line block ×3, first 2 shown]
	s_and_saveexec_b64 s[4:5], s[0:1]
	s_xor_b64 s[4:5], exec, s[4:5]
	s_cbranch_execz .LBB19_7
; %bb.6:
	global_load_dwordx2 v[12:13], v[4:5], off offset:256
	global_load_dword v8, v[6:7], off offset:128
	s_movk_i32 s0, 0xff
	v_mov_b32_e32 v4, 1
	v_mov_b32_e32 v5, 0xc61c4000
	s_waitcnt vmcnt(1)
	v_lshlrev_b32_e32 v15, 16, v12
	v_and_b32_e32 v1, 0xffff0000, v12
	s_waitcnt vmcnt(0)
	v_lshrrev_b32_e32 v6, 8, v8
	v_and_b32_sdwa v7, v8, s0 dst_sel:DWORD dst_unused:UNUSED_PAD src0_sel:WORD_1 src1_sel:DWORD
	v_alignbit_b32 v12, v13, v12, 16
	v_mul_f32_e32 v15, s12, v15
	v_cmp_ne_u16_sdwa s[0:1], v8, v4 src0_sel:BYTE_0 src1_sel:DWORD
	v_and_b32_e32 v13, 0xffff0000, v13
	v_mul_f32_e32 v16, s12, v1
	v_and_b32_e32 v12, 0xffff0000, v12
	v_cndmask_b32_e64 v1, v5, v15, s[0:1]
	v_cmp_ne_u16_sdwa s[0:1], v6, v4 src0_sel:BYTE_0 src1_sel:DWORD
	v_mul_f32_e32 v17, s12, v13
	v_cndmask_b32_e64 v13, v5, v16, s[0:1]
	v_mul_f32_e32 v6, s12, v12
	v_cmp_ne_u16_e64 s[0:1], 1, v7
	v_cndmask_b32_e64 v12, v5, v6, s[0:1]
	v_cmp_ne_u16_sdwa s[0:1], v8, v4 src0_sel:BYTE_3 src1_sel:DWORD
	v_cndmask_b32_e64 v8, v5, v17, s[0:1]
.LBB19_7:
	s_or_b64 exec, exec, s[4:5]
.LBB19_8:
	s_or_b64 exec, exec, s[2:3]
	v_cmp_gt_f32_e64 s[0:1], v14, v11
	v_cndmask_b32_e64 v4, v11, v14, s[0:1]
	v_cmp_gt_f32_e64 s[0:1], v4, v10
	v_cndmask_b32_e64 v4, v10, v4, s[0:1]
	;; [unrolled: 2-line block ×5, first 2 shown]
	v_mbcnt_lo_u32_b32 v5, -1, 0
	v_cmp_gt_f32_e64 s[0:1], v4, v12
	v_mbcnt_hi_u32_b32 v5, -1, v5
	v_cndmask_b32_e64 v4, v12, v4, s[0:1]
	v_and_b32_e32 v6, 0x60, v5
	v_cmp_gt_f32_e64 s[0:1], v4, v8
	v_add_u32_e32 v6, 32, v6
	v_xor_b32_e32 v7, 16, v5
	v_cndmask_b32_e64 v4, v8, v4, s[0:1]
	v_cmp_lt_i32_e64 s[0:1], v7, v6
	v_cndmask_b32_e64 v7, v5, v7, s[0:1]
	v_lshlrev_b32_e32 v7, 2, v7
	ds_bpermute_b32 v15, v7, v4
	s_mov_b32 s2, 0x3fb8aa3b
	s_mov_b32 s3, 0xc2ce8ed0
	;; [unrolled: 1-line block ×3, first 2 shown]
	v_mov_b32_e32 v21, 0x7f800000
	s_waitcnt lgkmcnt(0)
	v_cmp_lt_f32_e64 s[0:1], v4, v15
	v_cndmask_b32_e64 v4, v4, v15, s[0:1]
	v_xor_b32_e32 v15, 8, v5
	v_cmp_lt_i32_e64 s[0:1], v15, v6
	v_cndmask_b32_e64 v15, v5, v15, s[0:1]
	v_lshlrev_b32_e32 v17, 2, v15
	ds_bpermute_b32 v15, v17, v4
	s_waitcnt lgkmcnt(0)
	v_cmp_lt_f32_e64 s[0:1], v4, v15
	v_cndmask_b32_e64 v4, v4, v15, s[0:1]
	v_xor_b32_e32 v15, 4, v5
	v_cmp_lt_i32_e64 s[0:1], v15, v6
	v_cndmask_b32_e64 v15, v5, v15, s[0:1]
	v_lshlrev_b32_e32 v18, 2, v15
	ds_bpermute_b32 v15, v18, v4
	;; [unrolled: 8-line block ×4, first 2 shown]
	s_waitcnt lgkmcnt(0)
	v_cmp_lt_f32_e64 s[0:1], v4, v5
	v_cndmask_b32_e64 v4, v4, v5, s[0:1]
	v_sub_f32_e32 v5, v14, v4
	v_mul_f32_e32 v6, 0x3fb8aa3b, v5
	v_fma_f32 v14, v5, s2, -v6
	v_rndne_f32_e32 v15, v6
	v_fmac_f32_e32 v14, 0x32a5705f, v5
	v_sub_f32_e32 v6, v6, v15
	v_add_f32_e32 v6, v6, v14
	v_exp_f32_e32 v6, v6
	v_cvt_i32_f32_e32 v14, v15
	v_sub_f32_e32 v11, v11, v4
	v_cmp_ngt_f32_e64 s[0:1], s3, v5
	v_sub_f32_e32 v10, v10, v4
	v_ldexp_f32 v6, v6, v14
	v_mul_f32_e32 v14, 0x3fb8aa3b, v11
	v_fma_f32 v15, v11, s2, -v14
	v_rndne_f32_e32 v16, v14
	v_fmac_f32_e32 v15, 0x32a5705f, v11
	v_sub_f32_e32 v14, v14, v16
	v_add_f32_e32 v14, v14, v15
	v_exp_f32_e32 v14, v14
	v_cvt_i32_f32_e32 v15, v16
	v_cndmask_b32_e64 v6, 0, v6, s[0:1]
	v_cmp_nlt_f32_e64 s[0:1], s4, v5
	v_sub_f32_e32 v9, v9, v4
	v_ldexp_f32 v5, v14, v15
	v_mul_f32_e32 v14, 0x3fb8aa3b, v10
	v_fma_f32 v15, v10, s2, -v14
	v_rndne_f32_e32 v16, v14
	v_fmac_f32_e32 v15, 0x32a5705f, v10
	v_sub_f32_e32 v14, v14, v16
	v_add_f32_e32 v14, v14, v15
	v_exp_f32_e32 v14, v14
	v_cvt_i32_f32_e32 v15, v16
	v_cndmask_b32_e64 v6, v21, v6, s[0:1]
	v_cmp_ngt_f32_e64 s[0:1], s3, v11
	v_cndmask_b32_e64 v5, 0, v5, s[0:1]
	v_ldexp_f32 v14, v14, v15
	v_mul_f32_e32 v15, 0x3fb8aa3b, v9
	v_fma_f32 v16, v9, s2, -v15
	v_rndne_f32_e32 v22, v15
	v_fmac_f32_e32 v16, 0x32a5705f, v9
	v_sub_f32_e32 v15, v15, v22
	v_add_f32_e32 v15, v15, v16
	v_exp_f32_e32 v15, v15
	v_cvt_i32_f32_e32 v16, v22
	v_cmp_nlt_f32_e64 s[0:1], s4, v11
	v_cndmask_b32_e64 v11, v21, v5, s[0:1]
	v_cmp_ngt_f32_e64 s[0:1], s3, v10
	v_cndmask_b32_e64 v14, 0, v14, s[0:1]
	v_cmp_nlt_f32_e64 s[0:1], s4, v10
	v_cndmask_b32_e64 v10, v21, v14, s[0:1]
	v_ldexp_f32 v14, v15, v16
	v_sub_f32_e32 v15, v1, v4
	v_mul_f32_e32 v1, 0x3fb8aa3b, v15
	v_fma_f32 v16, v15, s2, -v1
	v_rndne_f32_e32 v22, v1
	v_fmac_f32_e32 v16, 0x32a5705f, v15
	v_sub_f32_e32 v1, v1, v22
	v_add_f32_e32 v1, v1, v16
	v_exp_f32_e32 v16, v1
	v_cvt_i32_f32_e32 v22, v22
	v_cmp_ngt_f32_e64 s[0:1], s3, v9
	v_cndmask_b32_e64 v14, 0, v14, s[0:1]
	v_cmp_nlt_f32_e64 s[0:1], s4, v9
	v_sub_f32_e32 v13, v13, v4
	v_cndmask_b32_e64 v1, v21, v14, s[0:1]
	v_mul_f32_e32 v14, 0x3fb8aa3b, v13
	v_ldexp_f32 v9, v16, v22
	v_fma_f32 v16, v13, s2, -v14
	v_rndne_f32_e32 v22, v14
	v_fmac_f32_e32 v16, 0x32a5705f, v13
	v_sub_f32_e32 v14, v14, v22
	v_add_f32_e32 v14, v14, v16
	v_exp_f32_e32 v14, v14
	v_cvt_i32_f32_e32 v22, v22
	v_cmp_ngt_f32_e64 s[0:1], s3, v15
	v_cndmask_b32_e64 v9, 0, v9, s[0:1]
	v_cmp_nlt_f32_e64 s[0:1], s4, v15
	v_sub_f32_e32 v12, v12, v4
	v_cndmask_b32_e64 v16, v21, v9, s[0:1]
	v_ldexp_f32 v9, v14, v22
	v_mul_f32_e32 v14, 0x3fb8aa3b, v12
	v_fma_f32 v15, v12, s2, -v14
	v_rndne_f32_e32 v22, v14
	v_fmac_f32_e32 v15, 0x32a5705f, v12
	v_sub_f32_e32 v14, v14, v22
	v_add_f32_e32 v14, v14, v15
	v_exp_f32_e32 v14, v14
	v_cvt_i32_f32_e32 v22, v22
	v_cmp_ngt_f32_e64 s[0:1], s3, v13
	v_sub_f32_e32 v8, v8, v4
	v_cndmask_b32_e64 v9, 0, v9, s[0:1]
	v_cmp_nlt_f32_e64 s[0:1], s4, v13
	v_mul_f32_e32 v13, 0x3fb8aa3b, v8
	v_cndmask_b32_e64 v15, v21, v9, s[0:1]
	v_ldexp_f32 v9, v14, v22
	v_fma_f32 v14, v8, s2, -v13
	v_rndne_f32_e32 v22, v13
	v_fmac_f32_e32 v14, 0x32a5705f, v8
	v_sub_f32_e32 v13, v13, v22
	v_add_f32_e32 v13, v13, v14
	v_exp_f32_e32 v13, v13
	v_cvt_i32_f32_e32 v22, v22
	v_add_f32_e32 v5, v6, v11
	v_add_f32_e32 v5, v5, v10
	v_cmp_ngt_f32_e64 s[0:1], s3, v12
	v_add_f32_e32 v5, v5, v1
	v_cndmask_b32_e64 v9, 0, v9, s[0:1]
	v_cmp_nlt_f32_e64 s[0:1], s4, v12
	v_add_f32_e32 v5, v5, v16
	v_cndmask_b32_e64 v14, v21, v9, s[0:1]
	v_ldexp_f32 v9, v13, v22
	v_cmp_ngt_f32_e64 s[0:1], s3, v8
	v_add_f32_e32 v5, v5, v15
	v_cndmask_b32_e64 v9, 0, v9, s[0:1]
	v_cmp_nlt_f32_e64 s[0:1], s4, v8
	v_add_f32_e32 v5, v5, v14
	v_cndmask_b32_e64 v12, v21, v9, s[0:1]
	v_add_f32_e32 v5, v5, v12
	ds_bpermute_b32 v7, v7, v5
	v_cmp_gt_i32_e64 s[0:1], s14, v0
	s_and_b64 s[0:1], vcc, s[0:1]
	s_waitcnt lgkmcnt(0)
	v_add_f32_e32 v5, v5, v7
	ds_bpermute_b32 v7, v17, v5
	s_waitcnt lgkmcnt(0)
	v_add_f32_e32 v5, v5, v7
	ds_bpermute_b32 v7, v18, v5
	;; [unrolled: 3-line block ×4, first 2 shown]
	s_and_saveexec_b64 s[2:3], s[0:1]
	s_cbranch_execz .LBB19_59
; %bb.9:
	s_mov_b32 s0, 0xc61c4000
	v_cmp_neq_f32_e64 s[0:1], s0, v4
	s_waitcnt lgkmcnt(0)
	v_add_f32_e32 v13, v5, v7
	v_pk_mov_b32 v[4:5], 0, 0
	s_and_saveexec_b64 s[2:3], s[0:1]
	s_cbranch_execnz .LBB19_13
; %bb.10:
	s_or_b64 exec, exec, s[2:3]
	v_pk_mov_b32 v[6:7], 0, 0
	s_and_saveexec_b64 s[2:3], s[0:1]
	s_cbranch_execnz .LBB19_18
.LBB19_11:
	s_or_b64 exec, exec, s[2:3]
	v_pk_mov_b32 v[8:9], 0, 0
	s_and_saveexec_b64 s[2:3], s[0:1]
	s_cbranch_execnz .LBB19_23
.LBB19_12:
	s_or_b64 exec, exec, s[2:3]
	v_pk_mov_b32 v[10:11], 0, 0
	s_and_saveexec_b64 s[2:3], s[0:1]
	s_cbranch_execnz .LBB19_28
	s_branch .LBB19_33
.LBB19_13:
	v_div_scale_f32 v4, s[4:5], v13, v13, v6
	v_rcp_f32_e32 v5, v4
	v_div_scale_f32 v7, vcc, v6, v13, v6
	s_mov_b32 s4, 0x7f800000
	v_fma_f32 v8, -v4, v5, 1.0
	v_fmac_f32_e32 v5, v8, v5
	v_mul_f32_e32 v8, v7, v5
	v_fma_f32 v9, -v4, v8, v7
	v_fmac_f32_e32 v8, v9, v5
	v_fma_f32 v4, -v4, v8, v7
	v_div_fmas_f32 v4, v4, v5, v8
	v_div_fixup_f32 v4, v4, v13, v6
	v_and_b32_e32 v5, 0x7f800000, v4
	v_cmp_ne_u32_e32 vcc, s4, v5
                                        ; implicit-def: $vgpr5
	s_and_saveexec_b64 s[4:5], vcc
	s_xor_b64 s[4:5], exec, s[4:5]
; %bb.14:
	v_bfe_u32 v5, v4, 16, 1
	s_movk_i32 s6, 0x7fff
	v_add3_u32 v5, v4, v5, s6
                                        ; implicit-def: $vgpr4
; %bb.15:
	s_andn2_saveexec_b64 s[4:5], s[4:5]
; %bb.16:
	v_mov_b32_e32 v5, 0
	v_or_b32_e32 v6, 0x10000, v4
	v_cmp_eq_u32_sdwa vcc, v4, v5 src0_sel:WORD_0 src1_sel:DWORD
	v_cndmask_b32_e32 v5, v6, v4, vcc
; %bb.17:
	s_or_b64 exec, exec, s[4:5]
	v_lshrrev_b32_e32 v4, 16, v5
	v_mov_b32_e32 v5, 0
	s_or_b64 exec, exec, s[2:3]
	v_pk_mov_b32 v[6:7], 0, 0
	s_and_saveexec_b64 s[2:3], s[0:1]
	s_cbranch_execz .LBB19_11
.LBB19_18:
	v_div_scale_f32 v6, s[4:5], v13, v13, v11
	v_rcp_f32_e32 v7, v6
	v_div_scale_f32 v8, vcc, v11, v13, v11
	s_mov_b32 s4, 0x7f800000
	v_fma_f32 v9, -v6, v7, 1.0
	v_fmac_f32_e32 v7, v9, v7
	v_mul_f32_e32 v9, v8, v7
	v_fma_f32 v17, -v6, v9, v8
	v_fmac_f32_e32 v9, v17, v7
	v_fma_f32 v6, -v6, v9, v8
	v_div_fmas_f32 v6, v6, v7, v9
	v_div_fixup_f32 v6, v6, v13, v11
	v_and_b32_e32 v7, 0x7f800000, v6
	v_cmp_ne_u32_e32 vcc, s4, v7
                                        ; implicit-def: $vgpr7
	s_and_saveexec_b64 s[4:5], vcc
	s_xor_b64 s[4:5], exec, s[4:5]
; %bb.19:
	v_bfe_u32 v7, v6, 16, 1
	s_movk_i32 s6, 0x7fff
	v_add3_u32 v7, v6, v7, s6
                                        ; implicit-def: $vgpr6
; %bb.20:
	s_andn2_saveexec_b64 s[4:5], s[4:5]
; %bb.21:
	v_mov_b32_e32 v7, 0
	v_or_b32_e32 v8, 0x10000, v6
	v_cmp_eq_u32_sdwa vcc, v6, v7 src0_sel:WORD_0 src1_sel:DWORD
	v_cndmask_b32_e32 v7, v8, v6, vcc
; %bb.22:
	s_or_b64 exec, exec, s[4:5]
	v_lshrrev_b32_e32 v6, 16, v7
	s_or_b64 exec, exec, s[2:3]
	v_pk_mov_b32 v[8:9], 0, 0
	s_and_saveexec_b64 s[2:3], s[0:1]
	s_cbranch_execz .LBB19_12
.LBB19_23:
	v_div_scale_f32 v7, s[4:5], v13, v13, v10
	v_rcp_f32_e32 v8, v7
	v_div_scale_f32 v9, vcc, v10, v13, v10
	s_mov_b32 s4, 0x7f800000
	v_fma_f32 v11, -v7, v8, 1.0
	v_fmac_f32_e32 v8, v11, v8
	v_mul_f32_e32 v11, v9, v8
	v_fma_f32 v17, -v7, v11, v9
	v_fmac_f32_e32 v11, v17, v8
	v_fma_f32 v7, -v7, v11, v9
	v_div_fmas_f32 v7, v7, v8, v11
	v_div_fixup_f32 v7, v7, v13, v10
	v_and_b32_e32 v8, 0x7f800000, v7
	v_cmp_ne_u32_e32 vcc, s4, v8
                                        ; implicit-def: $vgpr8
	s_and_saveexec_b64 s[4:5], vcc
	s_xor_b64 s[4:5], exec, s[4:5]
; %bb.24:
	v_bfe_u32 v8, v7, 16, 1
	s_movk_i32 s6, 0x7fff
	v_add3_u32 v8, v7, v8, s6
                                        ; implicit-def: $vgpr7
; %bb.25:
	s_andn2_saveexec_b64 s[4:5], s[4:5]
; %bb.26:
	v_mov_b32_e32 v8, 0
	v_or_b32_e32 v9, 0x10000, v7
	v_cmp_eq_u32_sdwa vcc, v7, v8 src0_sel:WORD_0 src1_sel:DWORD
	v_cndmask_b32_e32 v8, v9, v7, vcc
; %bb.27:
	s_or_b64 exec, exec, s[4:5]
	v_lshrrev_b32_e32 v9, 16, v8
	v_mov_b32_e32 v8, 0
	s_or_b64 exec, exec, s[2:3]
	v_pk_mov_b32 v[10:11], 0, 0
	s_and_saveexec_b64 s[2:3], s[0:1]
	s_cbranch_execz .LBB19_33
.LBB19_28:
	v_div_scale_f32 v7, s[4:5], v13, v13, v1
	v_rcp_f32_e32 v10, v7
	v_div_scale_f32 v11, vcc, v1, v13, v1
	s_mov_b32 s4, 0x7f800000
	v_fma_f32 v17, -v7, v10, 1.0
	v_fmac_f32_e32 v10, v17, v10
	v_mul_f32_e32 v17, v11, v10
	v_fma_f32 v18, -v7, v17, v11
	v_fmac_f32_e32 v17, v18, v10
	v_fma_f32 v7, -v7, v17, v11
	v_div_fmas_f32 v7, v7, v10, v17
	v_div_fixup_f32 v1, v7, v13, v1
	v_and_b32_e32 v7, 0x7f800000, v1
	v_cmp_ne_u32_e32 vcc, s4, v7
                                        ; implicit-def: $vgpr7
	s_and_saveexec_b64 s[4:5], vcc
	s_xor_b64 s[4:5], exec, s[4:5]
; %bb.29:
	v_bfe_u32 v7, v1, 16, 1
	s_movk_i32 s6, 0x7fff
	v_add3_u32 v7, v1, v7, s6
                                        ; implicit-def: $vgpr1
; %bb.30:
	s_andn2_saveexec_b64 s[4:5], s[4:5]
; %bb.31:
	v_mov_b32_e32 v7, 0
	v_or_b32_e32 v10, 0x10000, v1
	v_cmp_eq_u32_sdwa vcc, v1, v7 src0_sel:WORD_0 src1_sel:DWORD
	v_cndmask_b32_e32 v7, v10, v1, vcc
; %bb.32:
	s_or_b64 exec, exec, s[4:5]
	v_and_b32_e32 v11, 0xffff0000, v7
	v_mov_b32_e32 v10, 0
.LBB19_33:
	s_or_b64 exec, exec, s[2:3]
	v_mov_b32_e32 v1, s17
	v_add_co_u32_e32 v2, vcc, s16, v2
	v_or_b32_e32 v7, v10, v8
	v_addc_co_u32_e32 v3, vcc, v1, v3, vcc
	v_or_b32_e32 v1, v11, v9
	v_lshl_or_b32 v6, v6, 16, v7
	v_add_u32_e32 v0, 0x80, v0
	v_or_b32_e32 v5, v1, v5
	v_or_b32_e32 v4, v6, v4
	v_cmp_gt_u32_e32 vcc, s14, v0
	global_store_dwordx2 v[2:3], v[4:5], off
	s_and_b64 exec, exec, vcc
	s_cbranch_execz .LBB19_59
; %bb.34:
	v_pk_mov_b32 v[0:1], 0, 0
	s_and_saveexec_b64 s[2:3], s[0:1]
	s_cbranch_execnz .LBB19_38
; %bb.35:
	s_or_b64 exec, exec, s[2:3]
	v_pk_mov_b32 v[4:5], 0, 0
	s_and_saveexec_b64 s[2:3], s[0:1]
	s_cbranch_execnz .LBB19_43
.LBB19_36:
	s_or_b64 exec, exec, s[2:3]
	v_pk_mov_b32 v[6:7], 0, 0
	s_and_saveexec_b64 s[2:3], s[0:1]
	s_cbranch_execnz .LBB19_48
.LBB19_37:
	s_or_b64 exec, exec, s[2:3]
	v_pk_mov_b32 v[8:9], 0, 0
	s_and_saveexec_b64 s[2:3], s[0:1]
	s_cbranch_execnz .LBB19_53
	s_branch .LBB19_58
.LBB19_38:
	v_div_scale_f32 v0, s[4:5], v13, v13, v16
	v_rcp_f32_e32 v1, v0
	v_div_scale_f32 v4, vcc, v16, v13, v16
	s_mov_b32 s4, 0x7f800000
	v_fma_f32 v5, -v0, v1, 1.0
	v_fmac_f32_e32 v1, v5, v1
	v_mul_f32_e32 v5, v4, v1
	v_fma_f32 v6, -v0, v5, v4
	v_fmac_f32_e32 v5, v6, v1
	v_fma_f32 v0, -v0, v5, v4
	v_div_fmas_f32 v0, v0, v1, v5
	v_div_fixup_f32 v0, v0, v13, v16
	v_and_b32_e32 v1, 0x7f800000, v0
	v_cmp_ne_u32_e32 vcc, s4, v1
                                        ; implicit-def: $vgpr1
	s_and_saveexec_b64 s[4:5], vcc
	s_xor_b64 s[4:5], exec, s[4:5]
; %bb.39:
	v_bfe_u32 v1, v0, 16, 1
	s_movk_i32 s6, 0x7fff
	v_add3_u32 v1, v0, v1, s6
                                        ; implicit-def: $vgpr0
; %bb.40:
	s_andn2_saveexec_b64 s[4:5], s[4:5]
; %bb.41:
	v_mov_b32_e32 v1, 0
	v_or_b32_e32 v4, 0x10000, v0
	v_cmp_eq_u32_sdwa vcc, v0, v1 src0_sel:WORD_0 src1_sel:DWORD
	v_cndmask_b32_e32 v1, v4, v0, vcc
; %bb.42:
	s_or_b64 exec, exec, s[4:5]
	v_lshrrev_b32_e32 v0, 16, v1
	v_mov_b32_e32 v1, 0
	s_or_b64 exec, exec, s[2:3]
	v_pk_mov_b32 v[4:5], 0, 0
	s_and_saveexec_b64 s[2:3], s[0:1]
	s_cbranch_execz .LBB19_36
.LBB19_43:
	v_div_scale_f32 v4, s[4:5], v13, v13, v15
	v_rcp_f32_e32 v5, v4
	v_div_scale_f32 v6, vcc, v15, v13, v15
	s_mov_b32 s4, 0x7f800000
	v_fma_f32 v7, -v4, v5, 1.0
	v_fmac_f32_e32 v5, v7, v5
	v_mul_f32_e32 v7, v6, v5
	v_fma_f32 v8, -v4, v7, v6
	v_fmac_f32_e32 v7, v8, v5
	v_fma_f32 v4, -v4, v7, v6
	v_div_fmas_f32 v4, v4, v5, v7
	v_div_fixup_f32 v4, v4, v13, v15
	v_and_b32_e32 v5, 0x7f800000, v4
	v_cmp_ne_u32_e32 vcc, s4, v5
                                        ; implicit-def: $vgpr5
	s_and_saveexec_b64 s[4:5], vcc
	s_xor_b64 s[4:5], exec, s[4:5]
; %bb.44:
	v_bfe_u32 v5, v4, 16, 1
	s_movk_i32 s6, 0x7fff
	v_add3_u32 v5, v4, v5, s6
                                        ; implicit-def: $vgpr4
; %bb.45:
	s_andn2_saveexec_b64 s[4:5], s[4:5]
; %bb.46:
	v_mov_b32_e32 v5, 0
	v_or_b32_e32 v6, 0x10000, v4
	v_cmp_eq_u32_sdwa vcc, v4, v5 src0_sel:WORD_0 src1_sel:DWORD
	v_cndmask_b32_e32 v5, v6, v4, vcc
; %bb.47:
	s_or_b64 exec, exec, s[4:5]
	v_and_b32_e32 v4, 0xffff0000, v5
	v_mov_b32_e32 v5, 0
	s_or_b64 exec, exec, s[2:3]
	v_pk_mov_b32 v[6:7], 0, 0
	s_and_saveexec_b64 s[2:3], s[0:1]
	s_cbranch_execz .LBB19_37
.LBB19_48:
	v_div_scale_f32 v6, s[4:5], v13, v13, v14
	v_rcp_f32_e32 v7, v6
	v_div_scale_f32 v8, vcc, v14, v13, v14
	s_mov_b32 s4, 0x7f800000
	v_fma_f32 v9, -v6, v7, 1.0
	v_fmac_f32_e32 v7, v9, v7
	v_mul_f32_e32 v9, v8, v7
	v_fma_f32 v10, -v6, v9, v8
	v_fmac_f32_e32 v9, v10, v7
	v_fma_f32 v6, -v6, v9, v8
	v_div_fmas_f32 v6, v6, v7, v9
	v_div_fixup_f32 v6, v6, v13, v14
	v_and_b32_e32 v7, 0x7f800000, v6
	v_cmp_ne_u32_e32 vcc, s4, v7
                                        ; implicit-def: $vgpr7
	s_and_saveexec_b64 s[4:5], vcc
	s_xor_b64 s[4:5], exec, s[4:5]
; %bb.49:
	v_bfe_u32 v7, v6, 16, 1
	s_movk_i32 s6, 0x7fff
	v_add3_u32 v7, v6, v7, s6
                                        ; implicit-def: $vgpr6
; %bb.50:
	s_andn2_saveexec_b64 s[4:5], s[4:5]
; %bb.51:
	v_mov_b32_e32 v7, 0
	v_or_b32_e32 v8, 0x10000, v6
	v_cmp_eq_u32_sdwa vcc, v6, v7 src0_sel:WORD_0 src1_sel:DWORD
	v_cndmask_b32_e32 v7, v8, v6, vcc
; %bb.52:
	s_or_b64 exec, exec, s[4:5]
	v_lshrrev_b32_e32 v7, 16, v7
	v_mov_b32_e32 v6, 0
	s_or_b64 exec, exec, s[2:3]
	v_pk_mov_b32 v[8:9], 0, 0
	s_and_saveexec_b64 s[2:3], s[0:1]
	s_cbranch_execz .LBB19_58
.LBB19_53:
	v_div_scale_f32 v8, s[0:1], v13, v13, v12
	v_rcp_f32_e32 v9, v8
	v_div_scale_f32 v10, vcc, v12, v13, v12
	s_mov_b32 s0, 0x7f800000
	v_fma_f32 v11, -v8, v9, 1.0
	v_fmac_f32_e32 v9, v11, v9
	v_mul_f32_e32 v11, v10, v9
	v_fma_f32 v14, -v8, v11, v10
	v_fmac_f32_e32 v11, v14, v9
	v_fma_f32 v8, -v8, v11, v10
	v_div_fmas_f32 v8, v8, v9, v11
	v_div_fixup_f32 v8, v8, v13, v12
	v_and_b32_e32 v9, 0x7f800000, v8
	v_cmp_ne_u32_e32 vcc, s0, v9
                                        ; implicit-def: $vgpr9
	s_and_saveexec_b64 s[0:1], vcc
	s_xor_b64 s[0:1], exec, s[0:1]
; %bb.54:
	v_bfe_u32 v9, v8, 16, 1
	s_movk_i32 s4, 0x7fff
	v_add3_u32 v9, v8, v9, s4
                                        ; implicit-def: $vgpr8
; %bb.55:
	s_andn2_saveexec_b64 s[0:1], s[0:1]
; %bb.56:
	v_mov_b32_e32 v9, 0
	v_or_b32_e32 v10, 0x10000, v8
	v_cmp_eq_u32_sdwa vcc, v8, v9 src0_sel:WORD_0 src1_sel:DWORD
	v_cndmask_b32_e32 v9, v10, v8, vcc
; %bb.57:
	s_or_b64 exec, exec, s[0:1]
	v_and_b32_e32 v9, 0xffff0000, v9
	v_mov_b32_e32 v8, 0
.LBB19_58:
	s_or_b64 exec, exec, s[2:3]
	v_or_b32_e32 v7, v9, v7
	v_or_b32_e32 v6, v8, v6
	v_or3_b32 v1, v7, v5, v1
	v_or3_b32 v0, v6, v4, v0
	global_store_dwordx2 v[2:3], v[0:1], off offset:256
.LBB19_59:
	s_endpgm
	.section	.rodata,"a",@progbits
	.p2align	6, 0x0
	.amdhsa_kernel _Z34scaled_masked_softmax_warp_forwardI14__hip_bfloat16S0_fLi8EEvPT0_PKT_PKhT1_iii
		.amdhsa_group_segment_fixed_size 0
		.amdhsa_private_segment_fixed_size 0
		.amdhsa_kernarg_size 296
		.amdhsa_user_sgpr_count 6
		.amdhsa_user_sgpr_private_segment_buffer 1
		.amdhsa_user_sgpr_dispatch_ptr 0
		.amdhsa_user_sgpr_queue_ptr 0
		.amdhsa_user_sgpr_kernarg_segment_ptr 1
		.amdhsa_user_sgpr_dispatch_id 0
		.amdhsa_user_sgpr_flat_scratch_init 0
		.amdhsa_user_sgpr_kernarg_preload_length 0
		.amdhsa_user_sgpr_kernarg_preload_offset 0
		.amdhsa_user_sgpr_private_segment_size 0
		.amdhsa_uses_dynamic_stack 0
		.amdhsa_system_sgpr_private_segment_wavefront_offset 0
		.amdhsa_system_sgpr_workgroup_id_x 1
		.amdhsa_system_sgpr_workgroup_id_y 1
		.amdhsa_system_sgpr_workgroup_id_z 1
		.amdhsa_system_sgpr_workgroup_info 0
		.amdhsa_system_vgpr_workitem_id 1
		.amdhsa_next_free_vgpr 23
		.amdhsa_next_free_sgpr 20
		.amdhsa_accum_offset 24
		.amdhsa_reserve_vcc 1
		.amdhsa_reserve_flat_scratch 0
		.amdhsa_float_round_mode_32 0
		.amdhsa_float_round_mode_16_64 0
		.amdhsa_float_denorm_mode_32 3
		.amdhsa_float_denorm_mode_16_64 3
		.amdhsa_dx10_clamp 1
		.amdhsa_ieee_mode 1
		.amdhsa_fp16_overflow 0
		.amdhsa_tg_split 0
		.amdhsa_exception_fp_ieee_invalid_op 0
		.amdhsa_exception_fp_denorm_src 0
		.amdhsa_exception_fp_ieee_div_zero 0
		.amdhsa_exception_fp_ieee_overflow 0
		.amdhsa_exception_fp_ieee_underflow 0
		.amdhsa_exception_fp_ieee_inexact 0
		.amdhsa_exception_int_div_zero 0
	.end_amdhsa_kernel
	.section	.text._Z34scaled_masked_softmax_warp_forwardI14__hip_bfloat16S0_fLi8EEvPT0_PKT_PKhT1_iii,"axG",@progbits,_Z34scaled_masked_softmax_warp_forwardI14__hip_bfloat16S0_fLi8EEvPT0_PKT_PKhT1_iii,comdat
.Lfunc_end19:
	.size	_Z34scaled_masked_softmax_warp_forwardI14__hip_bfloat16S0_fLi8EEvPT0_PKT_PKhT1_iii, .Lfunc_end19-_Z34scaled_masked_softmax_warp_forwardI14__hip_bfloat16S0_fLi8EEvPT0_PKT_PKhT1_iii
                                        ; -- End function
	.section	.AMDGPU.csdata,"",@progbits
; Kernel info:
; codeLenInByte = 3628
; NumSgprs: 24
; NumVgprs: 23
; NumAgprs: 0
; TotalNumVgprs: 23
; ScratchSize: 0
; MemoryBound: 0
; FloatMode: 240
; IeeeMode: 1
; LDSByteSize: 0 bytes/workgroup (compile time only)
; SGPRBlocks: 2
; VGPRBlocks: 2
; NumSGPRsForWavesPerEU: 24
; NumVGPRsForWavesPerEU: 23
; AccumOffset: 24
; Occupancy: 8
; WaveLimiterHint : 0
; COMPUTE_PGM_RSRC2:SCRATCH_EN: 0
; COMPUTE_PGM_RSRC2:USER_SGPR: 6
; COMPUTE_PGM_RSRC2:TRAP_HANDLER: 0
; COMPUTE_PGM_RSRC2:TGID_X_EN: 1
; COMPUTE_PGM_RSRC2:TGID_Y_EN: 1
; COMPUTE_PGM_RSRC2:TGID_Z_EN: 1
; COMPUTE_PGM_RSRC2:TIDIG_COMP_CNT: 1
; COMPUTE_PGM_RSRC3_GFX90A:ACCUM_OFFSET: 5
; COMPUTE_PGM_RSRC3_GFX90A:TG_SPLIT: 0
	.section	.text._Z34scaled_masked_softmax_warp_forwardI14__hip_bfloat16S0_fLi9EEvPT0_PKT_PKhT1_iii,"axG",@progbits,_Z34scaled_masked_softmax_warp_forwardI14__hip_bfloat16S0_fLi9EEvPT0_PKT_PKhT1_iii,comdat
	.protected	_Z34scaled_masked_softmax_warp_forwardI14__hip_bfloat16S0_fLi9EEvPT0_PKT_PKhT1_iii ; -- Begin function _Z34scaled_masked_softmax_warp_forwardI14__hip_bfloat16S0_fLi9EEvPT0_PKT_PKhT1_iii
	.globl	_Z34scaled_masked_softmax_warp_forwardI14__hip_bfloat16S0_fLi9EEvPT0_PKT_PKhT1_iii
	.p2align	8
	.type	_Z34scaled_masked_softmax_warp_forwardI14__hip_bfloat16S0_fLi9EEvPT0_PKT_PKhT1_iii,@function
_Z34scaled_masked_softmax_warp_forwardI14__hip_bfloat16S0_fLi9EEvPT0_PKT_PKhT1_iii: ; @_Z34scaled_masked_softmax_warp_forwardI14__hip_bfloat16S0_fLi9EEvPT0_PKT_PKhT1_iii
; %bb.0:
	s_load_dword s2, s[4:5], 0x34
	s_load_dwordx4 s[12:15], s[4:5], 0x18
	s_load_dwordx2 s[0:1], s[4:5], 0x28
	s_mov_b32 s9, s6
	s_waitcnt lgkmcnt(0)
	s_lshr_b32 s2, s2, 16
	s_cmp_eq_u32 s15, 1
	s_cbranch_scc1 .LBB20_2
; %bb.1:
	s_mul_i32 s3, s0, s8
	s_add_i32 s9, s3, s6
.LBB20_2:
	s_mul_i32 s1, s1, s8
	s_add_i32 s1, s1, s7
	s_mul_i32 s0, s0, s1
	s_load_dwordx4 s[16:19], s[4:5], 0x0
	s_load_dwordx2 s[10:11], s[4:5], 0x10
	s_and_b32 s4, 0xffff, s2
	s_add_i32 s0, s0, s6
	s_mul_i32 s0, s0, s4
	v_bfe_u32 v4, v0, 10, 10
	v_and_b32_e32 v0, 0x3ff, v0
	v_add_u32_e32 v1, s0, v4
	v_lshlrev_b32_e32 v0, 2, v0
	v_mad_u64_u32 v[2:3], s[0:1], v1, s14, v[0:1]
	v_ashrrev_i32_e32 v3, 31, v2
	v_cmp_gt_i32_e32 vcc, s13, v1
	v_lshlrev_b64 v[2:3], 1, v[2:3]
                                        ; implicit-def: $vgpr22
                                        ; implicit-def: $vgpr20
                                        ; implicit-def: $vgpr17
                                        ; implicit-def: $vgpr10
                                        ; implicit-def: $vgpr21
                                        ; implicit-def: $vgpr18
                                        ; implicit-def: $vgpr15
                                        ; implicit-def: $vgpr1
                                        ; implicit-def: $vgpr19
                                        ; implicit-def: $vgpr16
                                        ; implicit-def: $vgpr13
                                        ; implicit-def: $vgpr11
                                        ; implicit-def: $vgpr8
                                        ; implicit-def: $vgpr14
                                        ; implicit-def: $vgpr12
                                        ; implicit-def: $vgpr9
	s_and_saveexec_b64 s[2:3], vcc
	s_cbranch_execz .LBB20_12
; %bb.3:
	s_mul_i32 s0, s9, s4
	v_add_u32_e32 v1, s0, v4
	s_waitcnt lgkmcnt(0)
	v_mov_b32_e32 v5, s19
	v_add_co_u32_e64 v4, s[0:1], s18, v2
	v_addc_co_u32_e64 v5, s[0:1], v5, v3, s[0:1]
	v_mad_u64_u32 v[6:7], s[0:1], v1, s14, v[0:1]
	v_ashrrev_i32_e32 v1, 31, v6
	v_mov_b32_e32 v7, s11
	v_add_co_u32_e64 v6, s[0:1], s10, v6
	v_addc_co_u32_e64 v7, s[0:1], v7, v1, s[0:1]
	v_cmp_gt_i32_e64 s[0:1], s14, v0
	v_mov_b32_e32 v1, 0xff800000
	v_mov_b32_e32 v10, 0xff800000
	;; [unrolled: 1-line block ×5, first 2 shown]
	s_and_saveexec_b64 s[4:5], s[0:1]
	s_cbranch_execz .LBB20_5
; %bb.4:
	global_load_dwordx2 v[8:9], v[4:5], off
	global_load_dword v10, v[6:7], off
	s_movk_i32 s0, 0xff
	v_mov_b32_e32 v11, 1
	v_mov_b32_e32 v12, 0xc61c4000
	s_waitcnt vmcnt(1)
	v_lshlrev_b32_e32 v16, 16, v8
	v_and_b32_e32 v13, 0xffff0000, v8
	s_waitcnt vmcnt(0)
	v_lshrrev_b32_e32 v14, 8, v10
	v_and_b32_sdwa v15, v10, s0 dst_sel:DWORD dst_unused:UNUSED_PAD src0_sel:WORD_1 src1_sel:DWORD
	v_alignbit_b32 v8, v9, v8, 16
	v_mul_f32_e32 v16, s12, v16
	v_cmp_ne_u16_sdwa s[0:1], v10, v11 src0_sel:BYTE_0 src1_sel:DWORD
	v_mul_f32_e32 v13, s12, v13
	v_and_b32_e32 v8, 0xffff0000, v8
	v_cndmask_b32_e64 v22, v12, v16, s[0:1]
	v_cmp_ne_u16_sdwa s[0:1], v14, v11 src0_sel:BYTE_0 src1_sel:DWORD
	v_and_b32_e32 v9, 0xffff0000, v9
	v_cndmask_b32_e64 v20, v12, v13, s[0:1]
	v_mul_f32_e32 v8, s12, v8
	v_cmp_ne_u16_e64 s[0:1], 1, v15
	v_mul_f32_e32 v9, s12, v9
	v_cndmask_b32_e64 v17, v12, v8, s[0:1]
	v_cmp_ne_u16_sdwa s[0:1], v10, v11 src0_sel:BYTE_3 src1_sel:DWORD
	v_cndmask_b32_e64 v10, v12, v9, s[0:1]
.LBB20_5:
	s_or_b64 exec, exec, s[4:5]
	v_add_u32_e32 v8, 0x80, v0
	v_cmp_gt_i32_e64 s[0:1], s14, v8
	v_mov_b32_e32 v15, 0xff800000
	v_mov_b32_e32 v18, 0xff800000
	;; [unrolled: 1-line block ×3, first 2 shown]
	s_and_saveexec_b64 s[4:5], s[0:1]
	s_cbranch_execz .LBB20_7
; %bb.6:
	global_load_dwordx2 v[8:9], v[4:5], off offset:256
	global_load_dword v1, v[6:7], off offset:128
	s_movk_i32 s0, 0xff
	v_mov_b32_e32 v11, 1
	v_mov_b32_e32 v12, 0xc61c4000
	s_waitcnt vmcnt(1)
	v_lshlrev_b32_e32 v16, 16, v8
	v_and_b32_e32 v13, 0xffff0000, v8
	s_waitcnt vmcnt(0)
	v_lshrrev_b32_e32 v14, 8, v1
	v_and_b32_sdwa v15, v1, s0 dst_sel:DWORD dst_unused:UNUSED_PAD src0_sel:WORD_1 src1_sel:DWORD
	v_alignbit_b32 v8, v9, v8, 16
	v_mul_f32_e32 v16, s12, v16
	v_cmp_ne_u16_sdwa s[0:1], v1, v11 src0_sel:BYTE_0 src1_sel:DWORD
	v_mul_f32_e32 v13, s12, v13
	v_and_b32_e32 v8, 0xffff0000, v8
	v_cndmask_b32_e64 v21, v12, v16, s[0:1]
	v_cmp_ne_u16_sdwa s[0:1], v14, v11 src0_sel:BYTE_0 src1_sel:DWORD
	v_and_b32_e32 v9, 0xffff0000, v9
	v_cndmask_b32_e64 v18, v12, v13, s[0:1]
	v_mul_f32_e32 v8, s12, v8
	v_cmp_ne_u16_e64 s[0:1], 1, v15
	v_mul_f32_e32 v9, s12, v9
	v_cndmask_b32_e64 v15, v12, v8, s[0:1]
	v_cmp_ne_u16_sdwa s[0:1], v1, v11 src0_sel:BYTE_3 src1_sel:DWORD
	v_cndmask_b32_e64 v1, v12, v9, s[0:1]
.LBB20_7:
	s_or_b64 exec, exec, s[4:5]
	v_add_u32_e32 v8, 0x100, v0
	v_cmp_gt_i32_e64 s[0:1], s14, v8
	v_mov_b32_e32 v8, 0xff800000
	v_mov_b32_e32 v11, 0xff800000
	v_mov_b32_e32 v13, 0xff800000
	v_mov_b32_e32 v16, 0xff800000
	v_mov_b32_e32 v19, 0xff800000
	s_and_saveexec_b64 s[4:5], s[0:1]
	s_cbranch_execz .LBB20_9
; %bb.8:
	global_load_dwordx2 v[12:13], v[4:5], off offset:512
	global_load_dword v9, v[6:7], off offset:256
	s_movk_i32 s0, 0xff
	v_mov_b32_e32 v11, 1
	v_mov_b32_e32 v14, 0xc61c4000
	s_waitcnt vmcnt(1)
	v_lshlrev_b32_e32 v19, 16, v12
	v_and_b32_e32 v16, 0xffff0000, v12
	s_waitcnt vmcnt(0)
	v_lshrrev_b32_e32 v23, 8, v9
	v_and_b32_sdwa v24, v9, s0 dst_sel:DWORD dst_unused:UNUSED_PAD src0_sel:WORD_1 src1_sel:DWORD
	v_alignbit_b32 v12, v13, v12, 16
	v_mul_f32_e32 v19, s12, v19
	v_cmp_ne_u16_sdwa s[0:1], v9, v11 src0_sel:BYTE_0 src1_sel:DWORD
	v_mul_f32_e32 v16, s12, v16
	v_and_b32_e32 v12, 0xffff0000, v12
	v_cndmask_b32_e64 v19, v14, v19, s[0:1]
	v_cmp_ne_u16_sdwa s[0:1], v23, v11 src0_sel:BYTE_0 src1_sel:DWORD
	v_and_b32_e32 v13, 0xffff0000, v13
	v_cndmask_b32_e64 v16, v14, v16, s[0:1]
	v_mul_f32_e32 v12, s12, v12
	v_cmp_ne_u16_e64 s[0:1], 1, v24
	v_mul_f32_e32 v25, s12, v13
	v_cndmask_b32_e64 v13, v14, v12, s[0:1]
	v_cmp_ne_u16_sdwa s[0:1], v9, v11 src0_sel:BYTE_3 src1_sel:DWORD
	v_cndmask_b32_e64 v11, v14, v25, s[0:1]
.LBB20_9:
	s_or_b64 exec, exec, s[4:5]
	v_add_u32_e32 v9, 0x180, v0
	v_cmp_gt_i32_e64 s[0:1], s14, v9
	v_mov_b32_e32 v14, 0xff800000
	v_mov_b32_e32 v12, 0xff800000
	v_mov_b32_e32 v9, 0xff800000
	s_and_saveexec_b64 s[4:5], s[0:1]
	s_xor_b64 s[4:5], exec, s[4:5]
	s_cbranch_execz .LBB20_11
; %bb.10:
	global_load_dwordx2 v[8:9], v[4:5], off offset:768
	global_load_dword v23, v[6:7], off offset:384
	s_movk_i32 s0, 0xff
	v_mov_b32_e32 v4, 1
	v_mov_b32_e32 v5, 0xc61c4000
	s_waitcnt vmcnt(1)
	v_lshlrev_b32_e32 v14, 16, v8
	v_and_b32_e32 v6, 0xffff0000, v8
	s_waitcnt vmcnt(0)
	v_lshrrev_b32_e32 v7, 8, v23
	v_and_b32_sdwa v12, v23, s0 dst_sel:DWORD dst_unused:UNUSED_PAD src0_sel:WORD_1 src1_sel:DWORD
	v_alignbit_b32 v8, v9, v8, 16
	v_mul_f32_e32 v14, s12, v14
	v_cmp_ne_u16_sdwa s[0:1], v23, v4 src0_sel:BYTE_0 src1_sel:DWORD
	v_mul_f32_e32 v6, s12, v6
	v_and_b32_e32 v24, 0xffff0000, v8
	v_cndmask_b32_e64 v8, v5, v14, s[0:1]
	v_cmp_ne_u16_sdwa s[0:1], v7, v4 src0_sel:BYTE_0 src1_sel:DWORD
	v_and_b32_e32 v9, 0xffff0000, v9
	v_cndmask_b32_e64 v14, v5, v6, s[0:1]
	v_mul_f32_e32 v6, s12, v24
	v_cmp_ne_u16_e64 s[0:1], 1, v12
	v_mul_f32_e32 v9, s12, v9
	v_cndmask_b32_e64 v12, v5, v6, s[0:1]
	v_cmp_ne_u16_sdwa s[0:1], v23, v4 src0_sel:BYTE_3 src1_sel:DWORD
	v_cndmask_b32_e64 v9, v5, v9, s[0:1]
.LBB20_11:
	s_or_b64 exec, exec, s[4:5]
.LBB20_12:
	s_or_b64 exec, exec, s[2:3]
	v_cmp_gt_f32_e64 s[0:1], v22, v20
	v_cndmask_b32_e64 v4, v20, v22, s[0:1]
	v_cmp_gt_f32_e64 s[0:1], v4, v17
	v_cndmask_b32_e64 v4, v17, v4, s[0:1]
	;; [unrolled: 2-line block ×15, first 2 shown]
	v_mbcnt_lo_u32_b32 v4, -1, 0
	v_mbcnt_hi_u32_b32 v7, -1, v4
	v_and_b32_e32 v4, 0x60, v7
	v_add_u32_e32 v23, 32, v4
	v_xor_b32_e32 v4, 16, v7
	v_cmp_lt_i32_e64 s[0:1], v4, v23
	v_cndmask_b32_e64 v4, v7, v4, s[0:1]
	v_lshlrev_b32_e32 v4, 2, v4
	ds_bpermute_b32 v6, v4, v5
	s_mov_b32 s3, 0x3fb8aa3b
	s_mov_b32 s2, 0xc2ce8ed0
	;; [unrolled: 1-line block ×3, first 2 shown]
	v_mov_b32_e32 v29, 0x7f800000
	s_waitcnt lgkmcnt(0)
	v_cmp_lt_f32_e64 s[0:1], v5, v6
	v_cndmask_b32_e64 v6, v5, v6, s[0:1]
	v_xor_b32_e32 v5, 8, v7
	v_cmp_lt_i32_e64 s[0:1], v5, v23
	v_cndmask_b32_e64 v5, v7, v5, s[0:1]
	v_lshlrev_b32_e32 v5, 2, v5
	ds_bpermute_b32 v24, v5, v6
	s_waitcnt lgkmcnt(0)
	v_cmp_lt_f32_e64 s[0:1], v6, v24
	v_cndmask_b32_e64 v24, v6, v24, s[0:1]
	v_xor_b32_e32 v6, 4, v7
	v_cmp_lt_i32_e64 s[0:1], v6, v23
	v_cndmask_b32_e64 v6, v7, v6, s[0:1]
	v_lshlrev_b32_e32 v6, 2, v6
	ds_bpermute_b32 v25, v6, v24
	;; [unrolled: 8-line block ×4, first 2 shown]
	s_waitcnt lgkmcnt(0)
	v_cmp_lt_f32_e64 s[0:1], v24, v7
	v_cndmask_b32_e64 v7, v24, v7, s[0:1]
	v_sub_f32_e32 v22, v22, v7
	v_mul_f32_e32 v23, 0x3fb8aa3b, v22
	v_fma_f32 v24, v22, s3, -v23
	v_rndne_f32_e32 v25, v23
	v_fmac_f32_e32 v24, 0x32a5705f, v22
	v_sub_f32_e32 v23, v23, v25
	v_add_f32_e32 v23, v23, v24
	v_exp_f32_e32 v23, v23
	v_cvt_i32_f32_e32 v24, v25
	v_sub_f32_e32 v20, v20, v7
	v_cmp_ngt_f32_e64 s[0:1], s2, v22
	v_sub_f32_e32 v17, v17, v7
	v_ldexp_f32 v23, v23, v24
	v_mul_f32_e32 v24, 0x3fb8aa3b, v20
	v_fma_f32 v25, v20, s3, -v24
	v_rndne_f32_e32 v27, v24
	v_fmac_f32_e32 v25, 0x32a5705f, v20
	v_sub_f32_e32 v24, v24, v27
	v_add_f32_e32 v24, v24, v25
	v_exp_f32_e32 v24, v24
	v_cvt_i32_f32_e32 v25, v27
	v_cndmask_b32_e64 v23, 0, v23, s[0:1]
	v_cmp_nlt_f32_e64 s[0:1], s4, v22
	v_cndmask_b32_e64 v27, v29, v23, s[0:1]
	v_mul_f32_e32 v23, 0x3fb8aa3b, v17
	v_ldexp_f32 v22, v24, v25
	v_fma_f32 v24, v17, s3, -v23
	v_rndne_f32_e32 v25, v23
	v_fmac_f32_e32 v24, 0x32a5705f, v17
	v_sub_f32_e32 v23, v23, v25
	v_add_f32_e32 v23, v23, v24
	v_exp_f32_e32 v23, v23
	v_cvt_i32_f32_e32 v24, v25
	v_cmp_ngt_f32_e64 s[0:1], s2, v20
	v_cndmask_b32_e64 v22, 0, v22, s[0:1]
	v_cmp_nlt_f32_e64 s[0:1], s4, v20
	v_cndmask_b32_e64 v25, v29, v22, s[0:1]
	v_ldexp_f32 v22, v23, v24
	v_sub_f32_e32 v23, v10, v7
	v_mul_f32_e32 v10, 0x3fb8aa3b, v23
	v_fma_f32 v24, v23, s3, -v10
	v_rndne_f32_e32 v30, v10
	v_fmac_f32_e32 v24, 0x32a5705f, v23
	v_sub_f32_e32 v10, v10, v30
	v_add_f32_e32 v10, v10, v24
	v_exp_f32_e32 v24, v10
	v_cvt_i32_f32_e32 v30, v30
	v_cmp_ngt_f32_e64 s[0:1], s2, v17
	v_cndmask_b32_e64 v22, 0, v22, s[0:1]
	v_cmp_nlt_f32_e64 s[0:1], s4, v17
	v_sub_f32_e32 v21, v21, v7
	v_add_f32_e32 v20, v27, v25
	v_cndmask_b32_e64 v10, v29, v22, s[0:1]
	v_mul_f32_e32 v22, 0x3fb8aa3b, v21
	v_add_f32_e32 v17, v20, v10
	v_ldexp_f32 v20, v24, v30
	v_fma_f32 v24, v21, s3, -v22
	v_rndne_f32_e32 v30, v22
	v_fmac_f32_e32 v24, 0x32a5705f, v21
	v_sub_f32_e32 v22, v22, v30
	v_add_f32_e32 v22, v22, v24
	v_exp_f32_e32 v22, v22
	v_cvt_i32_f32_e32 v30, v30
	v_cmp_ngt_f32_e64 s[0:1], s2, v23
	v_cndmask_b32_e64 v20, 0, v20, s[0:1]
	v_cmp_nlt_f32_e64 s[0:1], s4, v23
	v_sub_f32_e32 v18, v18, v7
	v_cndmask_b32_e64 v24, v29, v20, s[0:1]
	v_ldexp_f32 v20, v22, v30
	v_mul_f32_e32 v22, 0x3fb8aa3b, v18
	v_fma_f32 v23, v18, s3, -v22
	v_rndne_f32_e32 v30, v22
	v_fmac_f32_e32 v23, 0x32a5705f, v18
	v_sub_f32_e32 v22, v22, v30
	v_add_f32_e32 v22, v22, v23
	v_exp_f32_e32 v22, v22
	v_cvt_i32_f32_e32 v30, v30
	v_cmp_ngt_f32_e64 s[0:1], s2, v21
	v_sub_f32_e32 v15, v15, v7
	v_cndmask_b32_e64 v20, 0, v20, s[0:1]
	v_cmp_nlt_f32_e64 s[0:1], s4, v21
	v_mul_f32_e32 v21, 0x3fb8aa3b, v15
	v_cndmask_b32_e64 v23, v29, v20, s[0:1]
	v_ldexp_f32 v20, v22, v30
	v_fma_f32 v22, v15, s3, -v21
	v_rndne_f32_e32 v30, v21
	v_fmac_f32_e32 v22, 0x32a5705f, v15
	v_sub_f32_e32 v21, v21, v30
	v_add_f32_e32 v21, v21, v22
	v_exp_f32_e32 v21, v21
	v_cvt_i32_f32_e32 v30, v30
	v_cmp_ngt_f32_e64 s[0:1], s2, v18
	v_cndmask_b32_e64 v20, 0, v20, s[0:1]
	v_cmp_nlt_f32_e64 s[0:1], s4, v18
	v_sub_f32_e32 v1, v1, v7
	v_cndmask_b32_e64 v22, v29, v20, s[0:1]
	v_mul_f32_e32 v20, 0x3fb8aa3b, v1
	v_ldexp_f32 v18, v21, v30
	v_fma_f32 v21, v1, s3, -v20
	v_rndne_f32_e32 v30, v20
	v_fmac_f32_e32 v21, 0x32a5705f, v1
	v_sub_f32_e32 v20, v20, v30
	v_add_f32_e32 v20, v20, v21
	v_cmp_ngt_f32_e64 s[0:1], s2, v15
	v_exp_f32_e32 v20, v20
	v_cvt_i32_f32_e32 v30, v30
	v_add_f32_e32 v17, v17, v24
	v_cndmask_b32_e64 v18, 0, v18, s[0:1]
	v_cmp_nlt_f32_e64 s[0:1], s4, v15
	v_add_f32_e32 v17, v17, v23
	v_cndmask_b32_e64 v21, v29, v18, s[0:1]
	v_sub_f32_e32 v18, v19, v7
	v_add_f32_e32 v17, v17, v22
	v_mul_f32_e32 v19, 0x3fb8aa3b, v18
	v_add_f32_e32 v15, v17, v21
	v_ldexp_f32 v17, v20, v30
	v_fma_f32 v20, v18, s3, -v19
	v_rndne_f32_e32 v30, v19
	v_fmac_f32_e32 v20, 0x32a5705f, v18
	v_sub_f32_e32 v19, v19, v30
	v_add_f32_e32 v19, v19, v20
	v_exp_f32_e32 v19, v19
	v_cvt_i32_f32_e32 v30, v30
	v_cmp_ngt_f32_e64 s[0:1], s2, v1
	v_cndmask_b32_e64 v17, 0, v17, s[0:1]
	v_cmp_nlt_f32_e64 s[0:1], s4, v1
	v_sub_f32_e32 v16, v16, v7
	v_cndmask_b32_e64 v20, v29, v17, s[0:1]
	v_mul_f32_e32 v17, 0x3fb8aa3b, v16
	v_add_f32_e32 v1, v15, v20
	v_ldexp_f32 v15, v19, v30
	v_fma_f32 v19, v16, s3, -v17
	v_rndne_f32_e32 v30, v17
	v_fmac_f32_e32 v19, 0x32a5705f, v16
	v_sub_f32_e32 v17, v17, v30
	v_add_f32_e32 v17, v17, v19
	v_exp_f32_e32 v17, v17
	v_cvt_i32_f32_e32 v30, v30
	v_cmp_ngt_f32_e64 s[0:1], s2, v18
	v_cndmask_b32_e64 v15, 0, v15, s[0:1]
	v_cmp_nlt_f32_e64 s[0:1], s4, v18
	v_sub_f32_e32 v13, v13, v7
	v_cndmask_b32_e64 v19, v29, v15, s[0:1]
	v_ldexp_f32 v15, v17, v30
	v_mul_f32_e32 v17, 0x3fb8aa3b, v13
	v_fma_f32 v18, v13, s3, -v17
	v_rndne_f32_e32 v30, v17
	v_fmac_f32_e32 v18, 0x32a5705f, v13
	v_sub_f32_e32 v17, v17, v30
	v_add_f32_e32 v17, v17, v18
	v_exp_f32_e32 v17, v17
	v_cvt_i32_f32_e32 v30, v30
	v_cmp_ngt_f32_e64 s[0:1], s2, v16
	v_sub_f32_e32 v11, v11, v7
	v_cndmask_b32_e64 v15, 0, v15, s[0:1]
	v_cmp_nlt_f32_e64 s[0:1], s4, v16
	v_mul_f32_e32 v16, 0x3fb8aa3b, v11
	v_cndmask_b32_e64 v18, v29, v15, s[0:1]
	v_ldexp_f32 v15, v17, v30
	v_fma_f32 v17, v11, s3, -v16
	v_rndne_f32_e32 v30, v16
	v_fmac_f32_e32 v17, 0x32a5705f, v11
	v_sub_f32_e32 v16, v16, v30
	v_add_f32_e32 v16, v16, v17
	v_exp_f32_e32 v16, v16
	v_cvt_i32_f32_e32 v30, v30
	v_cmp_ngt_f32_e64 s[0:1], s2, v13
	v_add_f32_e32 v1, v1, v19
	v_cndmask_b32_e64 v15, 0, v15, s[0:1]
	v_cmp_nlt_f32_e64 s[0:1], s4, v13
	v_sub_f32_e32 v8, v8, v7
	v_add_f32_e32 v1, v1, v18
	v_cndmask_b32_e64 v17, v29, v15, s[0:1]
	v_mul_f32_e32 v15, 0x3fb8aa3b, v8
	v_add_f32_e32 v13, v1, v17
	v_ldexp_f32 v1, v16, v30
	v_fma_f32 v16, v8, s3, -v15
	v_rndne_f32_e32 v30, v15
	v_fmac_f32_e32 v16, 0x32a5705f, v8
	v_sub_f32_e32 v15, v15, v30
	v_add_f32_e32 v15, v15, v16
	v_exp_f32_e32 v15, v15
	v_cvt_i32_f32_e32 v16, v30
	v_cmp_ngt_f32_e64 s[0:1], s2, v11
	v_cndmask_b32_e64 v1, 0, v1, s[0:1]
	v_cmp_nlt_f32_e64 s[0:1], s4, v11
	v_cndmask_b32_e64 v1, v29, v1, s[0:1]
	v_sub_f32_e32 v14, v14, v7
	v_add_f32_e32 v11, v13, v1
	v_ldexp_f32 v13, v15, v16
	v_mul_f32_e32 v15, 0x3fb8aa3b, v14
	v_fma_f32 v16, v14, s3, -v15
	v_rndne_f32_e32 v30, v15
	v_fmac_f32_e32 v16, 0x32a5705f, v14
	v_sub_f32_e32 v15, v15, v30
	v_add_f32_e32 v15, v15, v16
	v_exp_f32_e32 v15, v15
	v_cvt_i32_f32_e32 v30, v30
	v_cmp_ngt_f32_e64 s[0:1], s2, v8
	v_cndmask_b32_e64 v13, 0, v13, s[0:1]
	v_cmp_nlt_f32_e64 s[0:1], s4, v8
	v_sub_f32_e32 v12, v12, v7
	v_cndmask_b32_e64 v16, v29, v13, s[0:1]
	v_mul_f32_e32 v13, 0x3fb8aa3b, v12
	v_add_f32_e32 v8, v11, v16
	v_ldexp_f32 v11, v15, v30
	v_fma_f32 v15, v12, s3, -v13
	v_rndne_f32_e32 v30, v13
	v_fmac_f32_e32 v15, 0x32a5705f, v12
	v_sub_f32_e32 v13, v13, v30
	v_add_f32_e32 v13, v13, v15
	v_exp_f32_e32 v13, v13
	v_cvt_i32_f32_e32 v30, v30
	v_cmp_ngt_f32_e64 s[0:1], s2, v14
	v_cndmask_b32_e64 v11, 0, v11, s[0:1]
	v_cmp_nlt_f32_e64 s[0:1], s4, v14
	v_sub_f32_e32 v9, v9, v7
	v_cndmask_b32_e64 v15, v29, v11, s[0:1]
	v_ldexp_f32 v11, v13, v30
	v_mul_f32_e32 v13, 0x3fb8aa3b, v9
	v_fma_f32 v14, v9, s3, -v13
	v_rndne_f32_e32 v30, v13
	v_fmac_f32_e32 v14, 0x32a5705f, v9
	v_sub_f32_e32 v13, v13, v30
	v_add_f32_e32 v13, v13, v14
	v_exp_f32_e32 v13, v13
	v_cvt_i32_f32_e32 v30, v30
	v_cmp_ngt_f32_e64 s[0:1], s2, v12
	v_cndmask_b32_e64 v11, 0, v11, s[0:1]
	v_cmp_nlt_f32_e64 s[0:1], s4, v12
	v_cndmask_b32_e64 v14, v29, v11, s[0:1]
	v_ldexp_f32 v11, v13, v30
	v_cmp_ngt_f32_e64 s[0:1], s2, v9
	v_add_f32_e32 v8, v8, v15
	v_cndmask_b32_e64 v11, 0, v11, s[0:1]
	v_cmp_nlt_f32_e64 s[0:1], s4, v9
	v_add_f32_e32 v8, v8, v14
	v_cndmask_b32_e64 v12, v29, v11, s[0:1]
	v_add_f32_e32 v8, v8, v12
	ds_bpermute_b32 v4, v4, v8
	v_cmp_gt_i32_e64 s[0:1], s14, v0
	s_and_b64 s[0:1], vcc, s[0:1]
	s_waitcnt lgkmcnt(0)
	v_add_f32_e32 v4, v8, v4
	ds_bpermute_b32 v5, v5, v4
	s_waitcnt lgkmcnt(0)
	v_add_f32_e32 v4, v4, v5
	ds_bpermute_b32 v5, v6, v4
	;; [unrolled: 3-line block ×4, first 2 shown]
	s_and_saveexec_b64 s[2:3], s[0:1]
	s_cbranch_execz .LBB20_113
; %bb.13:
	s_mov_b32 s0, 0xc61c4000
	v_cmp_neq_f32_e64 s[0:1], s0, v7
	s_waitcnt lgkmcnt(0)
	v_add_f32_e32 v13, v4, v5
	v_pk_mov_b32 v[4:5], 0, 0
	s_and_saveexec_b64 s[2:3], s[0:1]
	s_cbranch_execnz .LBB20_17
; %bb.14:
	s_or_b64 exec, exec, s[2:3]
	v_pk_mov_b32 v[6:7], 0, 0
	s_and_saveexec_b64 s[2:3], s[0:1]
	s_cbranch_execnz .LBB20_22
.LBB20_15:
	s_or_b64 exec, exec, s[2:3]
	v_pk_mov_b32 v[8:9], 0, 0
	s_and_saveexec_b64 s[2:3], s[0:1]
	s_cbranch_execnz .LBB20_27
.LBB20_16:
	s_or_b64 exec, exec, s[2:3]
	v_pk_mov_b32 v[10:11], 0, 0
	s_and_saveexec_b64 s[2:3], s[0:1]
	s_cbranch_execnz .LBB20_32
	s_branch .LBB20_37
.LBB20_17:
	v_div_scale_f32 v4, s[4:5], v13, v13, v27
	v_rcp_f32_e32 v5, v4
	v_div_scale_f32 v6, vcc, v27, v13, v27
	s_mov_b32 s4, 0x7f800000
	v_fma_f32 v7, -v4, v5, 1.0
	v_fmac_f32_e32 v5, v7, v5
	v_mul_f32_e32 v7, v6, v5
	v_fma_f32 v8, -v4, v7, v6
	v_fmac_f32_e32 v7, v8, v5
	v_fma_f32 v4, -v4, v7, v6
	v_div_fmas_f32 v4, v4, v5, v7
	v_div_fixup_f32 v4, v4, v13, v27
	v_and_b32_e32 v5, 0x7f800000, v4
	v_cmp_ne_u32_e32 vcc, s4, v5
                                        ; implicit-def: $vgpr5
	s_and_saveexec_b64 s[4:5], vcc
	s_xor_b64 s[4:5], exec, s[4:5]
; %bb.18:
	v_bfe_u32 v5, v4, 16, 1
	s_movk_i32 s6, 0x7fff
	v_add3_u32 v5, v4, v5, s6
                                        ; implicit-def: $vgpr4
; %bb.19:
	s_andn2_saveexec_b64 s[4:5], s[4:5]
; %bb.20:
	v_mov_b32_e32 v5, 0
	v_or_b32_e32 v6, 0x10000, v4
	v_cmp_eq_u32_sdwa vcc, v4, v5 src0_sel:WORD_0 src1_sel:DWORD
	v_cndmask_b32_e32 v5, v6, v4, vcc
; %bb.21:
	s_or_b64 exec, exec, s[4:5]
	v_lshrrev_b32_e32 v4, 16, v5
	v_mov_b32_e32 v5, 0
	s_or_b64 exec, exec, s[2:3]
	v_pk_mov_b32 v[6:7], 0, 0
	s_and_saveexec_b64 s[2:3], s[0:1]
	s_cbranch_execz .LBB20_15
.LBB20_22:
	v_div_scale_f32 v6, s[4:5], v13, v13, v25
	v_rcp_f32_e32 v7, v6
	v_div_scale_f32 v8, vcc, v25, v13, v25
	s_mov_b32 s4, 0x7f800000
	v_fma_f32 v9, -v6, v7, 1.0
	v_fmac_f32_e32 v7, v9, v7
	v_mul_f32_e32 v9, v8, v7
	v_fma_f32 v11, -v6, v9, v8
	v_fmac_f32_e32 v9, v11, v7
	v_fma_f32 v6, -v6, v9, v8
	v_div_fmas_f32 v6, v6, v7, v9
	v_div_fixup_f32 v6, v6, v13, v25
	v_and_b32_e32 v7, 0x7f800000, v6
	v_cmp_ne_u32_e32 vcc, s4, v7
                                        ; implicit-def: $vgpr7
	s_and_saveexec_b64 s[4:5], vcc
	s_xor_b64 s[4:5], exec, s[4:5]
; %bb.23:
	v_bfe_u32 v7, v6, 16, 1
	s_movk_i32 s6, 0x7fff
	v_add3_u32 v7, v6, v7, s6
                                        ; implicit-def: $vgpr6
; %bb.24:
	s_andn2_saveexec_b64 s[4:5], s[4:5]
; %bb.25:
	v_mov_b32_e32 v7, 0
	v_or_b32_e32 v8, 0x10000, v6
	v_cmp_eq_u32_sdwa vcc, v6, v7 src0_sel:WORD_0 src1_sel:DWORD
	v_cndmask_b32_e32 v7, v8, v6, vcc
; %bb.26:
	s_or_b64 exec, exec, s[4:5]
	v_lshrrev_b32_e32 v6, 16, v7
	s_or_b64 exec, exec, s[2:3]
	v_pk_mov_b32 v[8:9], 0, 0
	s_and_saveexec_b64 s[2:3], s[0:1]
	s_cbranch_execz .LBB20_16
.LBB20_27:
	v_div_scale_f32 v7, s[4:5], v13, v13, v10
	v_rcp_f32_e32 v8, v7
	v_div_scale_f32 v9, vcc, v10, v13, v10
	s_mov_b32 s4, 0x7f800000
	v_fma_f32 v11, -v7, v8, 1.0
	v_fmac_f32_e32 v8, v11, v8
	v_mul_f32_e32 v11, v9, v8
	v_fma_f32 v25, -v7, v11, v9
	v_fmac_f32_e32 v11, v25, v8
	v_fma_f32 v7, -v7, v11, v9
	v_div_fmas_f32 v7, v7, v8, v11
	v_div_fixup_f32 v7, v7, v13, v10
	v_and_b32_e32 v8, 0x7f800000, v7
	v_cmp_ne_u32_e32 vcc, s4, v8
                                        ; implicit-def: $vgpr8
	s_and_saveexec_b64 s[4:5], vcc
	s_xor_b64 s[4:5], exec, s[4:5]
; %bb.28:
	v_bfe_u32 v8, v7, 16, 1
	s_movk_i32 s6, 0x7fff
	v_add3_u32 v8, v7, v8, s6
                                        ; implicit-def: $vgpr7
; %bb.29:
	s_andn2_saveexec_b64 s[4:5], s[4:5]
; %bb.30:
	v_mov_b32_e32 v8, 0
	v_or_b32_e32 v9, 0x10000, v7
	v_cmp_eq_u32_sdwa vcc, v7, v8 src0_sel:WORD_0 src1_sel:DWORD
	v_cndmask_b32_e32 v8, v9, v7, vcc
; %bb.31:
	s_or_b64 exec, exec, s[4:5]
	v_lshrrev_b32_e32 v8, 16, v8
	s_or_b64 exec, exec, s[2:3]
	v_pk_mov_b32 v[10:11], 0, 0
	s_and_saveexec_b64 s[2:3], s[0:1]
	s_cbranch_execz .LBB20_37
.LBB20_32:
	v_div_scale_f32 v7, s[4:5], v13, v13, v24
	v_rcp_f32_e32 v9, v7
	v_div_scale_f32 v10, vcc, v24, v13, v24
	s_mov_b32 s4, 0x7f800000
	v_fma_f32 v11, -v7, v9, 1.0
	v_fmac_f32_e32 v9, v11, v9
	v_mul_f32_e32 v11, v10, v9
	v_fma_f32 v25, -v7, v11, v10
	v_fmac_f32_e32 v11, v25, v9
	v_fma_f32 v7, -v7, v11, v10
	v_div_fmas_f32 v7, v7, v9, v11
	v_div_fixup_f32 v7, v7, v13, v24
	v_and_b32_e32 v9, 0x7f800000, v7
	v_cmp_ne_u32_e32 vcc, s4, v9
                                        ; implicit-def: $vgpr9
	s_and_saveexec_b64 s[4:5], vcc
	s_xor_b64 s[4:5], exec, s[4:5]
; %bb.33:
	v_bfe_u32 v9, v7, 16, 1
	s_movk_i32 s6, 0x7fff
	v_add3_u32 v9, v7, v9, s6
                                        ; implicit-def: $vgpr7
; %bb.34:
	s_andn2_saveexec_b64 s[4:5], s[4:5]
; %bb.35:
	v_mov_b32_e32 v9, 0
	v_or_b32_e32 v10, 0x10000, v7
	v_cmp_eq_u32_sdwa vcc, v7, v9 src0_sel:WORD_0 src1_sel:DWORD
	v_cndmask_b32_e32 v9, v10, v7, vcc
; %bb.36:
	s_or_b64 exec, exec, s[4:5]
	v_lshrrev_b32_e32 v10, 16, v9
.LBB20_37:
	s_or_b64 exec, exec, s[2:3]
	v_mov_b32_e32 v7, s17
	v_add_co_u32_e32 v2, vcc, s16, v2
	v_addc_co_u32_e32 v3, vcc, v7, v3, vcc
	v_lshlrev_b32_e32 v9, 16, v10
	v_mov_b32_e32 v7, v8
	v_or_b32_e32 v7, v9, v7
	v_lshlrev_b32_e32 v6, 16, v6
	v_or_b32_e32 v5, v7, v5
	v_or_b32_e32 v4, v6, v4
	global_store_dwordx2 v[2:3], v[4:5], off
	v_add_u32_e32 v4, 0x80, v0
	v_cmp_gt_u32_e32 vcc, s14, v4
	s_and_b64 exec, exec, vcc
	s_cbranch_execz .LBB20_113
; %bb.38:
	v_pk_mov_b32 v[4:5], 0, 0
	s_and_saveexec_b64 s[2:3], s[0:1]
	s_cbranch_execnz .LBB20_42
; %bb.39:
	s_or_b64 exec, exec, s[2:3]
	v_pk_mov_b32 v[6:7], 0, 0
	s_and_saveexec_b64 s[2:3], s[0:1]
	s_cbranch_execnz .LBB20_47
.LBB20_40:
	s_or_b64 exec, exec, s[2:3]
	v_pk_mov_b32 v[8:9], 0, 0
	s_and_saveexec_b64 s[2:3], s[0:1]
	s_cbranch_execnz .LBB20_52
.LBB20_41:
	s_or_b64 exec, exec, s[2:3]
	v_pk_mov_b32 v[10:11], 0, 0
	s_and_saveexec_b64 s[2:3], s[0:1]
	s_cbranch_execnz .LBB20_57
	s_branch .LBB20_62
.LBB20_42:
	v_div_scale_f32 v4, s[4:5], v13, v13, v23
	v_rcp_f32_e32 v5, v4
	v_div_scale_f32 v6, vcc, v23, v13, v23
	s_mov_b32 s4, 0x7f800000
	v_fma_f32 v7, -v4, v5, 1.0
	v_fmac_f32_e32 v5, v7, v5
	v_mul_f32_e32 v7, v6, v5
	v_fma_f32 v8, -v4, v7, v6
	v_fmac_f32_e32 v7, v8, v5
	v_fma_f32 v4, -v4, v7, v6
	v_div_fmas_f32 v4, v4, v5, v7
	v_div_fixup_f32 v4, v4, v13, v23
	v_and_b32_e32 v5, 0x7f800000, v4
	v_cmp_ne_u32_e32 vcc, s4, v5
                                        ; implicit-def: $vgpr5
	s_and_saveexec_b64 s[4:5], vcc
	s_xor_b64 s[4:5], exec, s[4:5]
; %bb.43:
	v_bfe_u32 v5, v4, 16, 1
	s_movk_i32 s6, 0x7fff
	v_add3_u32 v5, v4, v5, s6
                                        ; implicit-def: $vgpr4
; %bb.44:
	s_andn2_saveexec_b64 s[4:5], s[4:5]
; %bb.45:
	v_mov_b32_e32 v5, 0
	v_or_b32_e32 v6, 0x10000, v4
	v_cmp_eq_u32_sdwa vcc, v4, v5 src0_sel:WORD_0 src1_sel:DWORD
	v_cndmask_b32_e32 v5, v6, v4, vcc
; %bb.46:
	s_or_b64 exec, exec, s[4:5]
	v_lshrrev_b32_e32 v4, 16, v5
	v_mov_b32_e32 v5, 0
	s_or_b64 exec, exec, s[2:3]
	v_pk_mov_b32 v[6:7], 0, 0
	s_and_saveexec_b64 s[2:3], s[0:1]
	s_cbranch_execz .LBB20_40
.LBB20_47:
	v_div_scale_f32 v6, s[4:5], v13, v13, v22
	v_rcp_f32_e32 v7, v6
	v_div_scale_f32 v8, vcc, v22, v13, v22
	s_mov_b32 s4, 0x7f800000
	v_fma_f32 v9, -v6, v7, 1.0
	v_fmac_f32_e32 v7, v9, v7
	v_mul_f32_e32 v9, v8, v7
	v_fma_f32 v10, -v6, v9, v8
	v_fmac_f32_e32 v9, v10, v7
	v_fma_f32 v6, -v6, v9, v8
	v_div_fmas_f32 v6, v6, v7, v9
	v_div_fixup_f32 v6, v6, v13, v22
	v_and_b32_e32 v7, 0x7f800000, v6
	v_cmp_ne_u32_e32 vcc, s4, v7
                                        ; implicit-def: $vgpr7
	s_and_saveexec_b64 s[4:5], vcc
	s_xor_b64 s[4:5], exec, s[4:5]
; %bb.48:
	v_bfe_u32 v7, v6, 16, 1
	s_movk_i32 s6, 0x7fff
	v_add3_u32 v7, v6, v7, s6
                                        ; implicit-def: $vgpr6
; %bb.49:
	s_andn2_saveexec_b64 s[4:5], s[4:5]
; %bb.50:
	v_mov_b32_e32 v7, 0
	v_or_b32_e32 v8, 0x10000, v6
	v_cmp_eq_u32_sdwa vcc, v6, v7 src0_sel:WORD_0 src1_sel:DWORD
	v_cndmask_b32_e32 v7, v8, v6, vcc
; %bb.51:
	s_or_b64 exec, exec, s[4:5]
	v_lshrrev_b32_e32 v6, 16, v7
	s_or_b64 exec, exec, s[2:3]
	v_pk_mov_b32 v[8:9], 0, 0
	s_and_saveexec_b64 s[2:3], s[0:1]
	s_cbranch_execz .LBB20_41
.LBB20_52:
	v_div_scale_f32 v7, s[4:5], v13, v13, v21
	v_rcp_f32_e32 v8, v7
	v_div_scale_f32 v9, vcc, v21, v13, v21
	s_mov_b32 s4, 0x7f800000
	v_fma_f32 v10, -v7, v8, 1.0
	v_fmac_f32_e32 v8, v10, v8
	v_mul_f32_e32 v10, v9, v8
	v_fma_f32 v11, -v7, v10, v9
	v_fmac_f32_e32 v10, v11, v8
	v_fma_f32 v7, -v7, v10, v9
	v_div_fmas_f32 v7, v7, v8, v10
	v_div_fixup_f32 v7, v7, v13, v21
	v_and_b32_e32 v8, 0x7f800000, v7
	v_cmp_ne_u32_e32 vcc, s4, v8
                                        ; implicit-def: $vgpr8
	s_and_saveexec_b64 s[4:5], vcc
	s_xor_b64 s[4:5], exec, s[4:5]
; %bb.53:
	v_bfe_u32 v8, v7, 16, 1
	s_movk_i32 s6, 0x7fff
	v_add3_u32 v8, v7, v8, s6
                                        ; implicit-def: $vgpr7
; %bb.54:
	s_andn2_saveexec_b64 s[4:5], s[4:5]
; %bb.55:
	v_mov_b32_e32 v8, 0
	v_or_b32_e32 v9, 0x10000, v7
	v_cmp_eq_u32_sdwa vcc, v7, v8 src0_sel:WORD_0 src1_sel:DWORD
	v_cndmask_b32_e32 v8, v9, v7, vcc
; %bb.56:
	s_or_b64 exec, exec, s[4:5]
	v_lshrrev_b32_e32 v8, 16, v8
	s_or_b64 exec, exec, s[2:3]
	v_pk_mov_b32 v[10:11], 0, 0
	s_and_saveexec_b64 s[2:3], s[0:1]
	s_cbranch_execz .LBB20_62
.LBB20_57:
	v_div_scale_f32 v7, s[4:5], v13, v13, v20
	v_rcp_f32_e32 v9, v7
	v_div_scale_f32 v10, vcc, v20, v13, v20
	s_mov_b32 s4, 0x7f800000
	v_fma_f32 v11, -v7, v9, 1.0
	v_fmac_f32_e32 v9, v11, v9
	v_mul_f32_e32 v11, v10, v9
	v_fma_f32 v21, -v7, v11, v10
	v_fmac_f32_e32 v11, v21, v9
	v_fma_f32 v7, -v7, v11, v10
	v_div_fmas_f32 v7, v7, v9, v11
	v_div_fixup_f32 v7, v7, v13, v20
	v_and_b32_e32 v9, 0x7f800000, v7
	v_cmp_ne_u32_e32 vcc, s4, v9
                                        ; implicit-def: $vgpr9
	s_and_saveexec_b64 s[4:5], vcc
	s_xor_b64 s[4:5], exec, s[4:5]
; %bb.58:
	v_bfe_u32 v9, v7, 16, 1
	s_movk_i32 s6, 0x7fff
	v_add3_u32 v9, v7, v9, s6
                                        ; implicit-def: $vgpr7
; %bb.59:
	s_andn2_saveexec_b64 s[4:5], s[4:5]
; %bb.60:
	v_mov_b32_e32 v9, 0
	v_or_b32_e32 v10, 0x10000, v7
	v_cmp_eq_u32_sdwa vcc, v7, v9 src0_sel:WORD_0 src1_sel:DWORD
	v_cndmask_b32_e32 v9, v10, v7, vcc
; %bb.61:
	s_or_b64 exec, exec, s[4:5]
	v_lshrrev_b32_e32 v10, 16, v9
.LBB20_62:
	s_or_b64 exec, exec, s[2:3]
	v_lshlrev_b32_e32 v9, 16, v10
	v_mov_b32_e32 v7, v8
	v_or_b32_e32 v7, v9, v7
	v_lshlrev_b32_e32 v6, 16, v6
	v_or_b32_e32 v5, v7, v5
	v_or_b32_e32 v4, v6, v4
	global_store_dwordx2 v[2:3], v[4:5], off offset:256
	v_add_u32_e32 v4, 0x100, v0
	v_cmp_gt_u32_e32 vcc, s14, v4
	s_and_b64 exec, exec, vcc
	s_cbranch_execz .LBB20_113
; %bb.63:
	v_pk_mov_b32 v[4:5], 0, 0
	s_and_saveexec_b64 s[2:3], s[0:1]
	s_cbranch_execnz .LBB20_67
; %bb.64:
	s_or_b64 exec, exec, s[2:3]
	v_pk_mov_b32 v[6:7], 0, 0
	s_and_saveexec_b64 s[2:3], s[0:1]
	s_cbranch_execnz .LBB20_72
.LBB20_65:
	s_or_b64 exec, exec, s[2:3]
	v_pk_mov_b32 v[8:9], 0, 0
	s_and_saveexec_b64 s[2:3], s[0:1]
	s_cbranch_execnz .LBB20_77
.LBB20_66:
	s_or_b64 exec, exec, s[2:3]
	v_pk_mov_b32 v[10:11], 0, 0
	s_and_saveexec_b64 s[2:3], s[0:1]
	s_cbranch_execnz .LBB20_82
	s_branch .LBB20_87
.LBB20_67:
	v_div_scale_f32 v4, s[4:5], v13, v13, v19
	v_rcp_f32_e32 v5, v4
	v_div_scale_f32 v6, vcc, v19, v13, v19
	s_mov_b32 s4, 0x7f800000
	v_fma_f32 v7, -v4, v5, 1.0
	v_fmac_f32_e32 v5, v7, v5
	v_mul_f32_e32 v7, v6, v5
	v_fma_f32 v8, -v4, v7, v6
	v_fmac_f32_e32 v7, v8, v5
	v_fma_f32 v4, -v4, v7, v6
	v_div_fmas_f32 v4, v4, v5, v7
	v_div_fixup_f32 v4, v4, v13, v19
	v_and_b32_e32 v5, 0x7f800000, v4
	v_cmp_ne_u32_e32 vcc, s4, v5
                                        ; implicit-def: $vgpr5
	s_and_saveexec_b64 s[4:5], vcc
	s_xor_b64 s[4:5], exec, s[4:5]
; %bb.68:
	v_bfe_u32 v5, v4, 16, 1
	s_movk_i32 s6, 0x7fff
	v_add3_u32 v5, v4, v5, s6
                                        ; implicit-def: $vgpr4
; %bb.69:
	s_andn2_saveexec_b64 s[4:5], s[4:5]
; %bb.70:
	v_mov_b32_e32 v5, 0
	v_or_b32_e32 v6, 0x10000, v4
	v_cmp_eq_u32_sdwa vcc, v4, v5 src0_sel:WORD_0 src1_sel:DWORD
	v_cndmask_b32_e32 v5, v6, v4, vcc
; %bb.71:
	s_or_b64 exec, exec, s[4:5]
	v_lshrrev_b32_e32 v4, 16, v5
	v_mov_b32_e32 v5, 0
	s_or_b64 exec, exec, s[2:3]
	v_pk_mov_b32 v[6:7], 0, 0
	s_and_saveexec_b64 s[2:3], s[0:1]
	s_cbranch_execz .LBB20_65
.LBB20_72:
	v_div_scale_f32 v6, s[4:5], v13, v13, v18
	v_rcp_f32_e32 v7, v6
	v_div_scale_f32 v8, vcc, v18, v13, v18
	s_mov_b32 s4, 0x7f800000
	v_fma_f32 v9, -v6, v7, 1.0
	v_fmac_f32_e32 v7, v9, v7
	v_mul_f32_e32 v9, v8, v7
	v_fma_f32 v10, -v6, v9, v8
	v_fmac_f32_e32 v9, v10, v7
	v_fma_f32 v6, -v6, v9, v8
	v_div_fmas_f32 v6, v6, v7, v9
	v_div_fixup_f32 v6, v6, v13, v18
	v_and_b32_e32 v7, 0x7f800000, v6
	v_cmp_ne_u32_e32 vcc, s4, v7
                                        ; implicit-def: $vgpr7
	s_and_saveexec_b64 s[4:5], vcc
	s_xor_b64 s[4:5], exec, s[4:5]
; %bb.73:
	v_bfe_u32 v7, v6, 16, 1
	s_movk_i32 s6, 0x7fff
	v_add3_u32 v7, v6, v7, s6
                                        ; implicit-def: $vgpr6
; %bb.74:
	s_andn2_saveexec_b64 s[4:5], s[4:5]
; %bb.75:
	v_mov_b32_e32 v7, 0
	v_or_b32_e32 v8, 0x10000, v6
	v_cmp_eq_u32_sdwa vcc, v6, v7 src0_sel:WORD_0 src1_sel:DWORD
	v_cndmask_b32_e32 v7, v8, v6, vcc
; %bb.76:
	s_or_b64 exec, exec, s[4:5]
	v_lshrrev_b32_e32 v6, 16, v7
	s_or_b64 exec, exec, s[2:3]
	v_pk_mov_b32 v[8:9], 0, 0
	s_and_saveexec_b64 s[2:3], s[0:1]
	s_cbranch_execz .LBB20_66
.LBB20_77:
	v_div_scale_f32 v7, s[4:5], v13, v13, v17
	v_rcp_f32_e32 v8, v7
	v_div_scale_f32 v9, vcc, v17, v13, v17
	s_mov_b32 s4, 0x7f800000
	v_fma_f32 v10, -v7, v8, 1.0
	v_fmac_f32_e32 v8, v10, v8
	v_mul_f32_e32 v10, v9, v8
	v_fma_f32 v11, -v7, v10, v9
	v_fmac_f32_e32 v10, v11, v8
	v_fma_f32 v7, -v7, v10, v9
	v_div_fmas_f32 v7, v7, v8, v10
	v_div_fixup_f32 v7, v7, v13, v17
	v_and_b32_e32 v8, 0x7f800000, v7
	v_cmp_ne_u32_e32 vcc, s4, v8
                                        ; implicit-def: $vgpr8
	s_and_saveexec_b64 s[4:5], vcc
	s_xor_b64 s[4:5], exec, s[4:5]
; %bb.78:
	v_bfe_u32 v8, v7, 16, 1
	s_movk_i32 s6, 0x7fff
	v_add3_u32 v8, v7, v8, s6
                                        ; implicit-def: $vgpr7
; %bb.79:
	s_andn2_saveexec_b64 s[4:5], s[4:5]
; %bb.80:
	v_mov_b32_e32 v8, 0
	v_or_b32_e32 v9, 0x10000, v7
	v_cmp_eq_u32_sdwa vcc, v7, v8 src0_sel:WORD_0 src1_sel:DWORD
	v_cndmask_b32_e32 v8, v9, v7, vcc
; %bb.81:
	s_or_b64 exec, exec, s[4:5]
	v_lshrrev_b32_e32 v9, 16, v8
	v_mov_b32_e32 v8, 0
	s_or_b64 exec, exec, s[2:3]
	v_pk_mov_b32 v[10:11], 0, 0
	s_and_saveexec_b64 s[2:3], s[0:1]
	s_cbranch_execz .LBB20_87
.LBB20_82:
	v_div_scale_f32 v7, s[4:5], v13, v13, v1
	v_rcp_f32_e32 v10, v7
	v_div_scale_f32 v11, vcc, v1, v13, v1
	s_mov_b32 s4, 0x7f800000
	v_fma_f32 v17, -v7, v10, 1.0
	v_fmac_f32_e32 v10, v17, v10
	v_mul_f32_e32 v17, v11, v10
	v_fma_f32 v18, -v7, v17, v11
	v_fmac_f32_e32 v17, v18, v10
	v_fma_f32 v7, -v7, v17, v11
	v_div_fmas_f32 v7, v7, v10, v17
	v_div_fixup_f32 v1, v7, v13, v1
	v_and_b32_e32 v7, 0x7f800000, v1
	v_cmp_ne_u32_e32 vcc, s4, v7
                                        ; implicit-def: $vgpr7
	s_and_saveexec_b64 s[4:5], vcc
	s_xor_b64 s[4:5], exec, s[4:5]
; %bb.83:
	v_bfe_u32 v7, v1, 16, 1
	s_movk_i32 s6, 0x7fff
	v_add3_u32 v7, v1, v7, s6
                                        ; implicit-def: $vgpr1
; %bb.84:
	s_andn2_saveexec_b64 s[4:5], s[4:5]
; %bb.85:
	v_mov_b32_e32 v7, 0
	v_or_b32_e32 v10, 0x10000, v1
	v_cmp_eq_u32_sdwa vcc, v1, v7 src0_sel:WORD_0 src1_sel:DWORD
	v_cndmask_b32_e32 v7, v10, v1, vcc
; %bb.86:
	s_or_b64 exec, exec, s[4:5]
	v_and_b32_e32 v11, 0xffff0000, v7
	v_mov_b32_e32 v10, 0
.LBB20_87:
	s_or_b64 exec, exec, s[2:3]
	v_or_b32_e32 v7, v10, v8
	v_or_b32_e32 v1, v11, v9
	v_lshl_or_b32 v6, v6, 16, v7
	v_add_u32_e32 v0, 0x180, v0
	v_or_b32_e32 v5, v1, v5
	v_or_b32_e32 v4, v6, v4
	v_cmp_gt_u32_e32 vcc, s14, v0
	global_store_dwordx2 v[2:3], v[4:5], off offset:512
	s_and_b64 exec, exec, vcc
	s_cbranch_execz .LBB20_113
; %bb.88:
	v_pk_mov_b32 v[0:1], 0, 0
	s_and_saveexec_b64 s[2:3], s[0:1]
	s_cbranch_execnz .LBB20_92
; %bb.89:
	s_or_b64 exec, exec, s[2:3]
	v_pk_mov_b32 v[4:5], 0, 0
	s_and_saveexec_b64 s[2:3], s[0:1]
	s_cbranch_execnz .LBB20_97
.LBB20_90:
	s_or_b64 exec, exec, s[2:3]
	v_pk_mov_b32 v[6:7], 0, 0
	s_and_saveexec_b64 s[2:3], s[0:1]
	s_cbranch_execnz .LBB20_102
.LBB20_91:
	s_or_b64 exec, exec, s[2:3]
	v_pk_mov_b32 v[8:9], 0, 0
	s_and_saveexec_b64 s[2:3], s[0:1]
	s_cbranch_execnz .LBB20_107
	s_branch .LBB20_112
.LBB20_92:
	v_div_scale_f32 v0, s[4:5], v13, v13, v16
	v_rcp_f32_e32 v1, v0
	v_div_scale_f32 v4, vcc, v16, v13, v16
	s_mov_b32 s4, 0x7f800000
	v_fma_f32 v5, -v0, v1, 1.0
	v_fmac_f32_e32 v1, v5, v1
	v_mul_f32_e32 v5, v4, v1
	v_fma_f32 v6, -v0, v5, v4
	v_fmac_f32_e32 v5, v6, v1
	v_fma_f32 v0, -v0, v5, v4
	v_div_fmas_f32 v0, v0, v1, v5
	v_div_fixup_f32 v0, v0, v13, v16
	v_and_b32_e32 v1, 0x7f800000, v0
	v_cmp_ne_u32_e32 vcc, s4, v1
                                        ; implicit-def: $vgpr1
	s_and_saveexec_b64 s[4:5], vcc
	s_xor_b64 s[4:5], exec, s[4:5]
; %bb.93:
	v_bfe_u32 v1, v0, 16, 1
	s_movk_i32 s6, 0x7fff
	v_add3_u32 v1, v0, v1, s6
                                        ; implicit-def: $vgpr0
; %bb.94:
	s_andn2_saveexec_b64 s[4:5], s[4:5]
; %bb.95:
	v_mov_b32_e32 v1, 0
	v_or_b32_e32 v4, 0x10000, v0
	v_cmp_eq_u32_sdwa vcc, v0, v1 src0_sel:WORD_0 src1_sel:DWORD
	v_cndmask_b32_e32 v1, v4, v0, vcc
; %bb.96:
	s_or_b64 exec, exec, s[4:5]
	v_lshrrev_b32_e32 v0, 16, v1
	v_mov_b32_e32 v1, 0
	s_or_b64 exec, exec, s[2:3]
	v_pk_mov_b32 v[4:5], 0, 0
	s_and_saveexec_b64 s[2:3], s[0:1]
	s_cbranch_execz .LBB20_90
.LBB20_97:
	v_div_scale_f32 v4, s[4:5], v13, v13, v15
	v_rcp_f32_e32 v5, v4
	v_div_scale_f32 v6, vcc, v15, v13, v15
	s_mov_b32 s4, 0x7f800000
	v_fma_f32 v7, -v4, v5, 1.0
	v_fmac_f32_e32 v5, v7, v5
	v_mul_f32_e32 v7, v6, v5
	v_fma_f32 v8, -v4, v7, v6
	v_fmac_f32_e32 v7, v8, v5
	v_fma_f32 v4, -v4, v7, v6
	v_div_fmas_f32 v4, v4, v5, v7
	v_div_fixup_f32 v4, v4, v13, v15
	v_and_b32_e32 v5, 0x7f800000, v4
	v_cmp_ne_u32_e32 vcc, s4, v5
                                        ; implicit-def: $vgpr5
	s_and_saveexec_b64 s[4:5], vcc
	s_xor_b64 s[4:5], exec, s[4:5]
; %bb.98:
	v_bfe_u32 v5, v4, 16, 1
	s_movk_i32 s6, 0x7fff
	v_add3_u32 v5, v4, v5, s6
                                        ; implicit-def: $vgpr4
; %bb.99:
	s_andn2_saveexec_b64 s[4:5], s[4:5]
; %bb.100:
	v_mov_b32_e32 v5, 0
	v_or_b32_e32 v6, 0x10000, v4
	v_cmp_eq_u32_sdwa vcc, v4, v5 src0_sel:WORD_0 src1_sel:DWORD
	v_cndmask_b32_e32 v5, v6, v4, vcc
; %bb.101:
	s_or_b64 exec, exec, s[4:5]
	v_and_b32_e32 v4, 0xffff0000, v5
	v_mov_b32_e32 v5, 0
	s_or_b64 exec, exec, s[2:3]
	v_pk_mov_b32 v[6:7], 0, 0
	s_and_saveexec_b64 s[2:3], s[0:1]
	s_cbranch_execz .LBB20_91
.LBB20_102:
	v_div_scale_f32 v6, s[4:5], v13, v13, v14
	v_rcp_f32_e32 v7, v6
	v_div_scale_f32 v8, vcc, v14, v13, v14
	s_mov_b32 s4, 0x7f800000
	v_fma_f32 v9, -v6, v7, 1.0
	v_fmac_f32_e32 v7, v9, v7
	v_mul_f32_e32 v9, v8, v7
	v_fma_f32 v10, -v6, v9, v8
	v_fmac_f32_e32 v9, v10, v7
	v_fma_f32 v6, -v6, v9, v8
	v_div_fmas_f32 v6, v6, v7, v9
	v_div_fixup_f32 v6, v6, v13, v14
	v_and_b32_e32 v7, 0x7f800000, v6
	v_cmp_ne_u32_e32 vcc, s4, v7
                                        ; implicit-def: $vgpr7
	s_and_saveexec_b64 s[4:5], vcc
	s_xor_b64 s[4:5], exec, s[4:5]
; %bb.103:
	v_bfe_u32 v7, v6, 16, 1
	s_movk_i32 s6, 0x7fff
	v_add3_u32 v7, v6, v7, s6
                                        ; implicit-def: $vgpr6
; %bb.104:
	s_andn2_saveexec_b64 s[4:5], s[4:5]
; %bb.105:
	v_mov_b32_e32 v7, 0
	v_or_b32_e32 v8, 0x10000, v6
	v_cmp_eq_u32_sdwa vcc, v6, v7 src0_sel:WORD_0 src1_sel:DWORD
	v_cndmask_b32_e32 v7, v8, v6, vcc
; %bb.106:
	s_or_b64 exec, exec, s[4:5]
	v_lshrrev_b32_e32 v7, 16, v7
	v_mov_b32_e32 v6, 0
	s_or_b64 exec, exec, s[2:3]
	v_pk_mov_b32 v[8:9], 0, 0
	s_and_saveexec_b64 s[2:3], s[0:1]
	s_cbranch_execz .LBB20_112
.LBB20_107:
	v_div_scale_f32 v8, s[0:1], v13, v13, v12
	v_rcp_f32_e32 v9, v8
	v_div_scale_f32 v10, vcc, v12, v13, v12
	s_mov_b32 s0, 0x7f800000
	v_fma_f32 v11, -v8, v9, 1.0
	v_fmac_f32_e32 v9, v11, v9
	v_mul_f32_e32 v11, v10, v9
	v_fma_f32 v14, -v8, v11, v10
	v_fmac_f32_e32 v11, v14, v9
	v_fma_f32 v8, -v8, v11, v10
	v_div_fmas_f32 v8, v8, v9, v11
	v_div_fixup_f32 v8, v8, v13, v12
	v_and_b32_e32 v9, 0x7f800000, v8
	v_cmp_ne_u32_e32 vcc, s0, v9
                                        ; implicit-def: $vgpr9
	s_and_saveexec_b64 s[0:1], vcc
	s_xor_b64 s[0:1], exec, s[0:1]
; %bb.108:
	v_bfe_u32 v9, v8, 16, 1
	s_movk_i32 s4, 0x7fff
	v_add3_u32 v9, v8, v9, s4
                                        ; implicit-def: $vgpr8
; %bb.109:
	s_andn2_saveexec_b64 s[0:1], s[0:1]
; %bb.110:
	v_mov_b32_e32 v9, 0
	v_or_b32_e32 v10, 0x10000, v8
	v_cmp_eq_u32_sdwa vcc, v8, v9 src0_sel:WORD_0 src1_sel:DWORD
	v_cndmask_b32_e32 v9, v10, v8, vcc
; %bb.111:
	s_or_b64 exec, exec, s[0:1]
	v_and_b32_e32 v9, 0xffff0000, v9
	v_mov_b32_e32 v8, 0
.LBB20_112:
	s_or_b64 exec, exec, s[2:3]
	v_or_b32_e32 v7, v9, v7
	v_or_b32_e32 v6, v8, v6
	v_or3_b32 v1, v7, v5, v1
	v_or3_b32 v0, v6, v4, v0
	global_store_dwordx2 v[2:3], v[0:1], off offset:768
.LBB20_113:
	s_endpgm
	.section	.rodata,"a",@progbits
	.p2align	6, 0x0
	.amdhsa_kernel _Z34scaled_masked_softmax_warp_forwardI14__hip_bfloat16S0_fLi9EEvPT0_PKT_PKhT1_iii
		.amdhsa_group_segment_fixed_size 0
		.amdhsa_private_segment_fixed_size 0
		.amdhsa_kernarg_size 296
		.amdhsa_user_sgpr_count 6
		.amdhsa_user_sgpr_private_segment_buffer 1
		.amdhsa_user_sgpr_dispatch_ptr 0
		.amdhsa_user_sgpr_queue_ptr 0
		.amdhsa_user_sgpr_kernarg_segment_ptr 1
		.amdhsa_user_sgpr_dispatch_id 0
		.amdhsa_user_sgpr_flat_scratch_init 0
		.amdhsa_user_sgpr_kernarg_preload_length 0
		.amdhsa_user_sgpr_kernarg_preload_offset 0
		.amdhsa_user_sgpr_private_segment_size 0
		.amdhsa_uses_dynamic_stack 0
		.amdhsa_system_sgpr_private_segment_wavefront_offset 0
		.amdhsa_system_sgpr_workgroup_id_x 1
		.amdhsa_system_sgpr_workgroup_id_y 1
		.amdhsa_system_sgpr_workgroup_id_z 1
		.amdhsa_system_sgpr_workgroup_info 0
		.amdhsa_system_vgpr_workitem_id 1
		.amdhsa_next_free_vgpr 31
		.amdhsa_next_free_sgpr 20
		.amdhsa_accum_offset 32
		.amdhsa_reserve_vcc 1
		.amdhsa_reserve_flat_scratch 0
		.amdhsa_float_round_mode_32 0
		.amdhsa_float_round_mode_16_64 0
		.amdhsa_float_denorm_mode_32 3
		.amdhsa_float_denorm_mode_16_64 3
		.amdhsa_dx10_clamp 1
		.amdhsa_ieee_mode 1
		.amdhsa_fp16_overflow 0
		.amdhsa_tg_split 0
		.amdhsa_exception_fp_ieee_invalid_op 0
		.amdhsa_exception_fp_denorm_src 0
		.amdhsa_exception_fp_ieee_div_zero 0
		.amdhsa_exception_fp_ieee_overflow 0
		.amdhsa_exception_fp_ieee_underflow 0
		.amdhsa_exception_fp_ieee_inexact 0
		.amdhsa_exception_int_div_zero 0
	.end_amdhsa_kernel
	.section	.text._Z34scaled_masked_softmax_warp_forwardI14__hip_bfloat16S0_fLi9EEvPT0_PKT_PKhT1_iii,"axG",@progbits,_Z34scaled_masked_softmax_warp_forwardI14__hip_bfloat16S0_fLi9EEvPT0_PKT_PKhT1_iii,comdat
.Lfunc_end20:
	.size	_Z34scaled_masked_softmax_warp_forwardI14__hip_bfloat16S0_fLi9EEvPT0_PKT_PKhT1_iii, .Lfunc_end20-_Z34scaled_masked_softmax_warp_forwardI14__hip_bfloat16S0_fLi9EEvPT0_PKT_PKhT1_iii
                                        ; -- End function
	.section	.AMDGPU.csdata,"",@progbits
; Kernel info:
; codeLenInByte = 6596
; NumSgprs: 24
; NumVgprs: 31
; NumAgprs: 0
; TotalNumVgprs: 31
; ScratchSize: 0
; MemoryBound: 0
; FloatMode: 240
; IeeeMode: 1
; LDSByteSize: 0 bytes/workgroup (compile time only)
; SGPRBlocks: 2
; VGPRBlocks: 3
; NumSGPRsForWavesPerEU: 24
; NumVGPRsForWavesPerEU: 31
; AccumOffset: 32
; Occupancy: 8
; WaveLimiterHint : 0
; COMPUTE_PGM_RSRC2:SCRATCH_EN: 0
; COMPUTE_PGM_RSRC2:USER_SGPR: 6
; COMPUTE_PGM_RSRC2:TRAP_HANDLER: 0
; COMPUTE_PGM_RSRC2:TGID_X_EN: 1
; COMPUTE_PGM_RSRC2:TGID_Y_EN: 1
; COMPUTE_PGM_RSRC2:TGID_Z_EN: 1
; COMPUTE_PGM_RSRC2:TIDIG_COMP_CNT: 1
; COMPUTE_PGM_RSRC3_GFX90A:ACCUM_OFFSET: 7
; COMPUTE_PGM_RSRC3_GFX90A:TG_SPLIT: 0
	.section	.text._Z34scaled_masked_softmax_warp_forwardI14__hip_bfloat16S0_fLi10EEvPT0_PKT_PKhT1_iii,"axG",@progbits,_Z34scaled_masked_softmax_warp_forwardI14__hip_bfloat16S0_fLi10EEvPT0_PKT_PKhT1_iii,comdat
	.protected	_Z34scaled_masked_softmax_warp_forwardI14__hip_bfloat16S0_fLi10EEvPT0_PKT_PKhT1_iii ; -- Begin function _Z34scaled_masked_softmax_warp_forwardI14__hip_bfloat16S0_fLi10EEvPT0_PKT_PKhT1_iii
	.globl	_Z34scaled_masked_softmax_warp_forwardI14__hip_bfloat16S0_fLi10EEvPT0_PKT_PKhT1_iii
	.p2align	8
	.type	_Z34scaled_masked_softmax_warp_forwardI14__hip_bfloat16S0_fLi10EEvPT0_PKT_PKhT1_iii,@function
_Z34scaled_masked_softmax_warp_forwardI14__hip_bfloat16S0_fLi10EEvPT0_PKT_PKhT1_iii: ; @_Z34scaled_masked_softmax_warp_forwardI14__hip_bfloat16S0_fLi10EEvPT0_PKT_PKhT1_iii
; %bb.0:
	s_load_dword s2, s[4:5], 0x34
	s_load_dwordx4 s[12:15], s[4:5], 0x18
	s_load_dwordx2 s[0:1], s[4:5], 0x28
	s_mov_b32 s9, s6
	s_waitcnt lgkmcnt(0)
	s_lshr_b32 s2, s2, 16
	s_cmp_eq_u32 s15, 1
	s_cbranch_scc1 .LBB21_2
; %bb.1:
	s_mul_i32 s3, s0, s8
	s_add_i32 s9, s3, s6
.LBB21_2:
	s_mul_i32 s1, s1, s8
	s_add_i32 s1, s1, s7
	s_mul_i32 s0, s0, s1
	s_load_dwordx4 s[16:19], s[4:5], 0x0
	s_load_dwordx2 s[10:11], s[4:5], 0x10
	s_and_b32 s4, 0xffff, s2
	s_add_i32 s0, s0, s6
	s_mul_i32 s0, s0, s4
	v_bfe_u32 v4, v0, 10, 10
	v_and_b32_e32 v0, 0x3ff, v0
	v_add_u32_e32 v1, s0, v4
	v_lshlrev_b32_e32 v0, 2, v0
	v_mad_u64_u32 v[2:3], s[0:1], v1, s14, v[0:1]
	v_ashrrev_i32_e32 v3, 31, v2
	v_cmp_gt_i32_e32 vcc, s13, v1
	v_lshlrev_b64 v[2:3], 1, v[2:3]
                                        ; implicit-def: $vgpr37
                                        ; implicit-def: $vgpr35
                                        ; implicit-def: $vgpr32
                                        ; implicit-def: $vgpr27
                                        ; implicit-def: $vgpr36
                                        ; implicit-def: $vgpr33
                                        ; implicit-def: $vgpr29
                                        ; implicit-def: $vgpr11
                                        ; implicit-def: $vgpr34
                                        ; implicit-def: $vgpr30
                                        ; implicit-def: $vgpr25
                                        ; implicit-def: $vgpr21
                                        ; implicit-def: $vgpr31
                                        ; implicit-def: $vgpr26
                                        ; implicit-def: $vgpr22
                                        ; implicit-def: $vgpr8
                                        ; implicit-def: $vgpr28
                                        ; implicit-def: $vgpr23
                                        ; implicit-def: $vgpr19
                                        ; implicit-def: $vgpr16
                                        ; implicit-def: $vgpr24
                                        ; implicit-def: $vgpr20
                                        ; implicit-def: $vgpr17
                                        ; implicit-def: $vgpr1
                                        ; implicit-def: $vgpr42
                                        ; implicit-def: $vgpr18
                                        ; implicit-def: $vgpr14
                                        ; implicit-def: $vgpr12
                                        ; implicit-def: $vgpr9
                                        ; implicit-def: $vgpr15
                                        ; implicit-def: $vgpr13
                                        ; implicit-def: $vgpr10
	s_and_saveexec_b64 s[2:3], vcc
	s_cbranch_execz .LBB21_20
; %bb.3:
	s_mul_i32 s0, s9, s4
	v_add_u32_e32 v1, s0, v4
	s_waitcnt lgkmcnt(0)
	v_mov_b32_e32 v5, s19
	v_add_co_u32_e64 v4, s[0:1], s18, v2
	v_addc_co_u32_e64 v5, s[0:1], v5, v3, s[0:1]
	v_mad_u64_u32 v[6:7], s[0:1], v1, s14, v[0:1]
	v_ashrrev_i32_e32 v1, 31, v6
	v_mov_b32_e32 v7, s11
	v_add_co_u32_e64 v6, s[0:1], s10, v6
	v_addc_co_u32_e64 v7, s[0:1], v7, v1, s[0:1]
	v_cmp_gt_i32_e64 s[0:1], s14, v0
	v_mov_b32_e32 v11, 0xff800000
	v_mov_b32_e32 v27, 0xff800000
	;; [unrolled: 1-line block ×5, first 2 shown]
	s_and_saveexec_b64 s[4:5], s[0:1]
	s_cbranch_execz .LBB21_5
; %bb.4:
	global_load_dwordx2 v[8:9], v[4:5], off
	global_load_dword v1, v[6:7], off
	s_movk_i32 s0, 0xff
	v_mov_b32_e32 v10, 1
	v_mov_b32_e32 v12, 0xc61c4000
	s_waitcnt vmcnt(1)
	v_lshlrev_b32_e32 v16, 16, v8
	v_and_b32_e32 v13, 0xffff0000, v8
	s_waitcnt vmcnt(0)
	v_lshrrev_b32_e32 v14, 8, v1
	v_and_b32_sdwa v15, v1, s0 dst_sel:DWORD dst_unused:UNUSED_PAD src0_sel:WORD_1 src1_sel:DWORD
	v_alignbit_b32 v8, v9, v8, 16
	v_mul_f32_e32 v16, s12, v16
	v_cmp_ne_u16_sdwa s[0:1], v1, v10 src0_sel:BYTE_0 src1_sel:DWORD
	v_mul_f32_e32 v13, s12, v13
	v_and_b32_e32 v8, 0xffff0000, v8
	v_cndmask_b32_e64 v37, v12, v16, s[0:1]
	v_cmp_ne_u16_sdwa s[0:1], v14, v10 src0_sel:BYTE_0 src1_sel:DWORD
	v_and_b32_e32 v9, 0xffff0000, v9
	v_cndmask_b32_e64 v35, v12, v13, s[0:1]
	v_mul_f32_e32 v8, s12, v8
	v_cmp_ne_u16_e64 s[0:1], 1, v15
	v_mul_f32_e32 v9, s12, v9
	v_cndmask_b32_e64 v32, v12, v8, s[0:1]
	v_cmp_ne_u16_sdwa s[0:1], v1, v10 src0_sel:BYTE_3 src1_sel:DWORD
	v_cndmask_b32_e64 v27, v12, v9, s[0:1]
.LBB21_5:
	s_or_b64 exec, exec, s[4:5]
	v_add_u32_e32 v1, 0x80, v0
	v_cmp_gt_i32_e64 s[0:1], s14, v1
	v_mov_b32_e32 v29, 0xff800000
	v_mov_b32_e32 v33, 0xff800000
	;; [unrolled: 1-line block ×3, first 2 shown]
	s_and_saveexec_b64 s[4:5], s[0:1]
	s_cbranch_execz .LBB21_7
; %bb.6:
	global_load_dwordx2 v[8:9], v[4:5], off offset:256
	global_load_dword v1, v[6:7], off offset:128
	s_movk_i32 s0, 0xff
	v_mov_b32_e32 v10, 1
	v_mov_b32_e32 v11, 0xc61c4000
	s_waitcnt vmcnt(1)
	v_lshlrev_b32_e32 v15, 16, v8
	v_and_b32_e32 v12, 0xffff0000, v8
	s_waitcnt vmcnt(0)
	v_lshrrev_b32_e32 v13, 8, v1
	v_and_b32_sdwa v14, v1, s0 dst_sel:DWORD dst_unused:UNUSED_PAD src0_sel:WORD_1 src1_sel:DWORD
	v_alignbit_b32 v8, v9, v8, 16
	v_mul_f32_e32 v15, s12, v15
	v_cmp_ne_u16_sdwa s[0:1], v1, v10 src0_sel:BYTE_0 src1_sel:DWORD
	v_mul_f32_e32 v12, s12, v12
	v_and_b32_e32 v8, 0xffff0000, v8
	v_cndmask_b32_e64 v36, v11, v15, s[0:1]
	v_cmp_ne_u16_sdwa s[0:1], v13, v10 src0_sel:BYTE_0 src1_sel:DWORD
	v_and_b32_e32 v9, 0xffff0000, v9
	v_cndmask_b32_e64 v33, v11, v12, s[0:1]
	v_mul_f32_e32 v8, s12, v8
	v_cmp_ne_u16_e64 s[0:1], 1, v14
	v_mul_f32_e32 v9, s12, v9
	v_cndmask_b32_e64 v29, v11, v8, s[0:1]
	v_cmp_ne_u16_sdwa s[0:1], v1, v10 src0_sel:BYTE_3 src1_sel:DWORD
	v_cndmask_b32_e64 v11, v11, v9, s[0:1]
.LBB21_7:
	s_or_b64 exec, exec, s[4:5]
	v_add_u32_e32 v1, 0x100, v0
	v_cmp_gt_i32_e64 s[0:1], s14, v1
	v_mov_b32_e32 v8, 0xff800000
	v_mov_b32_e32 v21, 0xff800000
	;; [unrolled: 1-line block ×5, first 2 shown]
	s_and_saveexec_b64 s[4:5], s[0:1]
	s_cbranch_execz .LBB21_9
; %bb.8:
	global_load_dwordx2 v[12:13], v[4:5], off offset:512
	global_load_dword v1, v[6:7], off offset:256
	s_movk_i32 s0, 0xff
	v_mov_b32_e32 v9, 1
	v_mov_b32_e32 v10, 0xc61c4000
	s_waitcnt vmcnt(1)
	v_lshlrev_b32_e32 v17, 16, v12
	v_and_b32_e32 v14, 0xffff0000, v12
	s_waitcnt vmcnt(0)
	v_lshrrev_b32_e32 v15, 8, v1
	v_and_b32_sdwa v16, v1, s0 dst_sel:DWORD dst_unused:UNUSED_PAD src0_sel:WORD_1 src1_sel:DWORD
	v_alignbit_b32 v12, v13, v12, 16
	v_mul_f32_e32 v17, s12, v17
	v_cmp_ne_u16_sdwa s[0:1], v1, v9 src0_sel:BYTE_0 src1_sel:DWORD
	v_mul_f32_e32 v14, s12, v14
	v_and_b32_e32 v12, 0xffff0000, v12
	v_cndmask_b32_e64 v34, v10, v17, s[0:1]
	v_cmp_ne_u16_sdwa s[0:1], v15, v9 src0_sel:BYTE_0 src1_sel:DWORD
	v_and_b32_e32 v13, 0xffff0000, v13
	v_cndmask_b32_e64 v30, v10, v14, s[0:1]
	v_mul_f32_e32 v12, s12, v12
	v_cmp_ne_u16_e64 s[0:1], 1, v16
	v_mul_f32_e32 v13, s12, v13
	v_cndmask_b32_e64 v25, v10, v12, s[0:1]
	v_cmp_ne_u16_sdwa s[0:1], v1, v9 src0_sel:BYTE_3 src1_sel:DWORD
	v_cndmask_b32_e64 v21, v10, v13, s[0:1]
.LBB21_9:
	s_or_b64 exec, exec, s[4:5]
	v_add_u32_e32 v1, 0x180, v0
	v_cmp_gt_i32_e64 s[0:1], s14, v1
	v_mov_b32_e32 v22, 0xff800000
	v_mov_b32_e32 v26, 0xff800000
	;; [unrolled: 1-line block ×3, first 2 shown]
	s_and_saveexec_b64 s[4:5], s[0:1]
	s_cbranch_execz .LBB21_11
; %bb.10:
	global_load_dwordx2 v[8:9], v[4:5], off offset:768
	global_load_dword v1, v[6:7], off offset:384
	s_movk_i32 s0, 0xff
	v_mov_b32_e32 v10, 1
	v_mov_b32_e32 v12, 0xc61c4000
	s_waitcnt vmcnt(1)
	v_lshlrev_b32_e32 v16, 16, v8
	v_and_b32_e32 v13, 0xffff0000, v8
	s_waitcnt vmcnt(0)
	v_lshrrev_b32_e32 v14, 8, v1
	v_and_b32_sdwa v15, v1, s0 dst_sel:DWORD dst_unused:UNUSED_PAD src0_sel:WORD_1 src1_sel:DWORD
	v_alignbit_b32 v8, v9, v8, 16
	v_mul_f32_e32 v16, s12, v16
	v_cmp_ne_u16_sdwa s[0:1], v1, v10 src0_sel:BYTE_0 src1_sel:DWORD
	v_mul_f32_e32 v13, s12, v13
	v_and_b32_e32 v8, 0xffff0000, v8
	v_cndmask_b32_e64 v31, v12, v16, s[0:1]
	v_cmp_ne_u16_sdwa s[0:1], v14, v10 src0_sel:BYTE_0 src1_sel:DWORD
	v_and_b32_e32 v9, 0xffff0000, v9
	v_cndmask_b32_e64 v26, v12, v13, s[0:1]
	v_mul_f32_e32 v8, s12, v8
	v_cmp_ne_u16_e64 s[0:1], 1, v15
	v_mul_f32_e32 v9, s12, v9
	v_cndmask_b32_e64 v22, v12, v8, s[0:1]
	v_cmp_ne_u16_sdwa s[0:1], v1, v10 src0_sel:BYTE_3 src1_sel:DWORD
	v_cndmask_b32_e64 v8, v12, v9, s[0:1]
.LBB21_11:
	s_or_b64 exec, exec, s[4:5]
	v_add_u32_e32 v1, 0x200, v0
	v_cmp_gt_i32_e64 s[0:1], s14, v1
	v_mov_b32_e32 v1, 0xff800000
	v_mov_b32_e32 v16, 0xff800000
	;; [unrolled: 1-line block ×5, first 2 shown]
	s_and_saveexec_b64 s[4:5], s[0:1]
	s_cbranch_execz .LBB21_13
; %bb.12:
	global_load_dwordx2 v[12:13], v[4:5], off offset:1024
	global_load_dword v9, v[6:7], off offset:512
	s_movk_i32 s0, 0xff
	v_mov_b32_e32 v10, 1
	v_mov_b32_e32 v14, 0xc61c4000
	s_waitcnt vmcnt(1)
	v_lshlrev_b32_e32 v18, 16, v12
	v_and_b32_e32 v15, 0xffff0000, v12
	s_waitcnt vmcnt(0)
	v_lshrrev_b32_e32 v16, 8, v9
	v_and_b32_sdwa v17, v9, s0 dst_sel:DWORD dst_unused:UNUSED_PAD src0_sel:WORD_1 src1_sel:DWORD
	v_alignbit_b32 v12, v13, v12, 16
	v_mul_f32_e32 v18, s12, v18
	v_cmp_ne_u16_sdwa s[0:1], v9, v10 src0_sel:BYTE_0 src1_sel:DWORD
	v_mul_f32_e32 v15, s12, v15
	v_and_b32_e32 v12, 0xffff0000, v12
	v_cndmask_b32_e64 v28, v14, v18, s[0:1]
	v_cmp_ne_u16_sdwa s[0:1], v16, v10 src0_sel:BYTE_0 src1_sel:DWORD
	v_and_b32_e32 v13, 0xffff0000, v13
	v_cndmask_b32_e64 v23, v14, v15, s[0:1]
	v_mul_f32_e32 v12, s12, v12
	v_cmp_ne_u16_e64 s[0:1], 1, v17
	v_mul_f32_e32 v13, s12, v13
	v_cndmask_b32_e64 v19, v14, v12, s[0:1]
	v_cmp_ne_u16_sdwa s[0:1], v9, v10 src0_sel:BYTE_3 src1_sel:DWORD
	v_cndmask_b32_e64 v16, v14, v13, s[0:1]
.LBB21_13:
	s_or_b64 exec, exec, s[4:5]
	v_add_u32_e32 v9, 0x280, v0
	v_cmp_gt_i32_e64 s[0:1], s14, v9
	v_mov_b32_e32 v17, 0xff800000
	v_mov_b32_e32 v20, 0xff800000
	;; [unrolled: 1-line block ×3, first 2 shown]
	s_and_saveexec_b64 s[4:5], s[0:1]
	s_cbranch_execz .LBB21_15
; %bb.14:
	global_load_dwordx2 v[12:13], v[4:5], off offset:1280
	global_load_dword v1, v[6:7], off offset:640
	s_movk_i32 s0, 0xff
	v_mov_b32_e32 v9, 1
	v_mov_b32_e32 v10, 0xc61c4000
	s_waitcnt vmcnt(1)
	v_lshlrev_b32_e32 v18, 16, v12
	v_and_b32_e32 v14, 0xffff0000, v12
	s_waitcnt vmcnt(0)
	v_lshrrev_b32_e32 v15, 8, v1
	v_and_b32_sdwa v17, v1, s0 dst_sel:DWORD dst_unused:UNUSED_PAD src0_sel:WORD_1 src1_sel:DWORD
	v_alignbit_b32 v12, v13, v12, 16
	v_mul_f32_e32 v18, s12, v18
	v_cmp_ne_u16_sdwa s[0:1], v1, v9 src0_sel:BYTE_0 src1_sel:DWORD
	v_mul_f32_e32 v14, s12, v14
	v_and_b32_e32 v12, 0xffff0000, v12
	v_cndmask_b32_e64 v24, v10, v18, s[0:1]
	v_cmp_ne_u16_sdwa s[0:1], v15, v9 src0_sel:BYTE_0 src1_sel:DWORD
	v_and_b32_e32 v13, 0xffff0000, v13
	v_cndmask_b32_e64 v20, v10, v14, s[0:1]
	v_mul_f32_e32 v12, s12, v12
	v_cmp_ne_u16_e64 s[0:1], 1, v17
	v_mul_f32_e32 v13, s12, v13
	v_cndmask_b32_e64 v17, v10, v12, s[0:1]
	v_cmp_ne_u16_sdwa s[0:1], v1, v9 src0_sel:BYTE_3 src1_sel:DWORD
	v_cndmask_b32_e64 v1, v10, v13, s[0:1]
.LBB21_15:
	s_or_b64 exec, exec, s[4:5]
	v_add_u32_e32 v9, 0x300, v0
	v_cmp_gt_i32_e64 s[0:1], s14, v9
	v_mov_b32_e32 v9, 0xff800000
	v_mov_b32_e32 v12, 0xff800000
	v_mov_b32_e32 v14, 0xff800000
	v_mov_b32_e32 v18, 0xff800000
	v_mov_b32_e32 v42, 0xff800000
	s_and_saveexec_b64 s[4:5], s[0:1]
	s_cbranch_execz .LBB21_17
; %bb.16:
	global_load_dwordx2 v[12:13], v[4:5], off offset:1536
	global_load_dword v10, v[6:7], off offset:768
	s_movk_i32 s0, 0xff
	v_mov_b32_e32 v15, 1
	v_mov_b32_e32 v38, 0xc61c4000
	s_waitcnt vmcnt(1)
	v_lshlrev_b32_e32 v40, 16, v12
	v_and_b32_e32 v14, 0xffff0000, v12
	s_waitcnt vmcnt(0)
	v_lshrrev_b32_e32 v18, 8, v10
	v_and_b32_sdwa v39, v10, s0 dst_sel:DWORD dst_unused:UNUSED_PAD src0_sel:WORD_1 src1_sel:DWORD
	v_alignbit_b32 v12, v13, v12, 16
	v_mul_f32_e32 v40, s12, v40
	v_cmp_ne_u16_sdwa s[0:1], v10, v15 src0_sel:BYTE_0 src1_sel:DWORD
	v_mul_f32_e32 v14, s12, v14
	v_and_b32_e32 v12, 0xffff0000, v12
	v_cndmask_b32_e64 v42, v38, v40, s[0:1]
	v_cmp_ne_u16_sdwa s[0:1], v18, v15 src0_sel:BYTE_0 src1_sel:DWORD
	v_and_b32_e32 v13, 0xffff0000, v13
	v_cndmask_b32_e64 v18, v38, v14, s[0:1]
	v_mul_f32_e32 v12, s12, v12
	v_cmp_ne_u16_e64 s[0:1], 1, v39
	v_mul_f32_e32 v13, s12, v13
	v_cndmask_b32_e64 v14, v38, v12, s[0:1]
	v_cmp_ne_u16_sdwa s[0:1], v10, v15 src0_sel:BYTE_3 src1_sel:DWORD
	v_cndmask_b32_e64 v12, v38, v13, s[0:1]
.LBB21_17:
	s_or_b64 exec, exec, s[4:5]
	v_add_u32_e32 v10, 0x380, v0
	v_cmp_gt_i32_e64 s[0:1], s14, v10
	v_mov_b32_e32 v15, 0xff800000
	v_mov_b32_e32 v13, 0xff800000
	;; [unrolled: 1-line block ×3, first 2 shown]
	s_and_saveexec_b64 s[4:5], s[0:1]
	s_xor_b64 s[4:5], exec, s[4:5]
	s_cbranch_execz .LBB21_19
; %bb.18:
	global_load_dwordx2 v[38:39], v[4:5], off offset:1792
	global_load_dword v10, v[6:7], off offset:896
	s_movk_i32 s0, 0xff
	v_mov_b32_e32 v4, 1
	v_mov_b32_e32 v5, 0xc61c4000
	s_waitcnt vmcnt(1)
	v_lshlrev_b32_e32 v9, 16, v38
	v_and_b32_e32 v6, 0xffff0000, v38
	s_waitcnt vmcnt(0)
	v_lshrrev_b32_e32 v7, 8, v10
	v_and_b32_sdwa v13, v10, s0 dst_sel:DWORD dst_unused:UNUSED_PAD src0_sel:WORD_1 src1_sel:DWORD
	v_alignbit_b32 v15, v39, v38, 16
	v_mul_f32_e32 v9, s12, v9
	v_cmp_ne_u16_sdwa s[0:1], v10, v4 src0_sel:BYTE_0 src1_sel:DWORD
	v_and_b32_e32 v38, 0xffff0000, v39
	v_mul_f32_e32 v6, s12, v6
	v_and_b32_e32 v39, 0xffff0000, v15
	v_cndmask_b32_e64 v9, v5, v9, s[0:1]
	v_cmp_ne_u16_sdwa s[0:1], v7, v4 src0_sel:BYTE_0 src1_sel:DWORD
	v_cndmask_b32_e64 v15, v5, v6, s[0:1]
	v_mul_f32_e32 v6, s12, v39
	v_cmp_ne_u16_e64 s[0:1], 1, v13
	v_mul_f32_e32 v38, s12, v38
	v_cndmask_b32_e64 v13, v5, v6, s[0:1]
	v_cmp_ne_u16_sdwa s[0:1], v10, v4 src0_sel:BYTE_3 src1_sel:DWORD
	v_cndmask_b32_e64 v10, v5, v38, s[0:1]
.LBB21_19:
	s_or_b64 exec, exec, s[4:5]
.LBB21_20:
	s_or_b64 exec, exec, s[2:3]
	v_cmp_gt_f32_e64 s[0:1], v37, v35
	v_cndmask_b32_e64 v4, v35, v37, s[0:1]
	v_cmp_gt_f32_e64 s[0:1], v4, v32
	v_cndmask_b32_e64 v4, v32, v4, s[0:1]
	;; [unrolled: 2-line block ×31, first 2 shown]
	v_mbcnt_lo_u32_b32 v4, -1, 0
	v_mbcnt_hi_u32_b32 v7, -1, v4
	v_and_b32_e32 v4, 0x60, v7
	v_add_u32_e32 v38, 32, v4
	v_xor_b32_e32 v4, 16, v7
	v_cmp_lt_i32_e64 s[0:1], v4, v38
	v_cndmask_b32_e64 v4, v7, v4, s[0:1]
	v_lshlrev_b32_e32 v4, 2, v4
	ds_bpermute_b32 v6, v4, v5
	s_mov_b32 s3, 0x3fb8aa3b
	s_mov_b32 s2, 0xc2ce8ed0
	;; [unrolled: 1-line block ×3, first 2 shown]
	v_mov_b32_e32 v47, 0x7f800000
	s_waitcnt lgkmcnt(0)
	v_cmp_lt_f32_e64 s[0:1], v5, v6
	v_cndmask_b32_e64 v6, v5, v6, s[0:1]
	v_xor_b32_e32 v5, 8, v7
	v_cmp_lt_i32_e64 s[0:1], v5, v38
	v_cndmask_b32_e64 v5, v7, v5, s[0:1]
	v_lshlrev_b32_e32 v5, 2, v5
	ds_bpermute_b32 v39, v5, v6
	s_waitcnt lgkmcnt(0)
	v_cmp_lt_f32_e64 s[0:1], v6, v39
	v_cndmask_b32_e64 v39, v6, v39, s[0:1]
	v_xor_b32_e32 v6, 4, v7
	v_cmp_lt_i32_e64 s[0:1], v6, v38
	v_cndmask_b32_e64 v6, v7, v6, s[0:1]
	v_lshlrev_b32_e32 v6, 2, v6
	ds_bpermute_b32 v40, v6, v39
	;; [unrolled: 8-line block ×4, first 2 shown]
	s_waitcnt lgkmcnt(0)
	v_cmp_lt_f32_e64 s[0:1], v39, v7
	v_cndmask_b32_e64 v7, v39, v7, s[0:1]
	v_sub_f32_e32 v37, v37, v7
	v_mul_f32_e32 v38, 0x3fb8aa3b, v37
	v_fma_f32 v39, v37, s3, -v38
	v_rndne_f32_e32 v40, v38
	v_fmac_f32_e32 v39, 0x32a5705f, v37
	v_sub_f32_e32 v38, v38, v40
	v_add_f32_e32 v38, v38, v39
	v_exp_f32_e32 v38, v38
	v_cvt_i32_f32_e32 v39, v40
	v_sub_f32_e32 v35, v35, v7
	v_cmp_ngt_f32_e64 s[0:1], s2, v37
	v_sub_f32_e32 v32, v32, v7
	v_ldexp_f32 v38, v38, v39
	v_mul_f32_e32 v39, 0x3fb8aa3b, v35
	v_fma_f32 v40, v35, s3, -v39
	v_rndne_f32_e32 v41, v39
	v_fmac_f32_e32 v40, 0x32a5705f, v35
	v_sub_f32_e32 v39, v39, v41
	v_add_f32_e32 v39, v39, v40
	v_exp_f32_e32 v39, v39
	v_cvt_i32_f32_e32 v40, v41
	v_cndmask_b32_e64 v38, 0, v38, s[0:1]
	v_cmp_nlt_f32_e64 s[0:1], s4, v37
	v_cndmask_b32_e64 v45, v47, v38, s[0:1]
	v_mul_f32_e32 v38, 0x3fb8aa3b, v32
	v_ldexp_f32 v37, v39, v40
	v_fma_f32 v39, v32, s3, -v38
	v_rndne_f32_e32 v40, v38
	v_fmac_f32_e32 v39, 0x32a5705f, v32
	v_sub_f32_e32 v38, v38, v40
	v_add_f32_e32 v38, v38, v39
	v_exp_f32_e32 v38, v38
	v_cvt_i32_f32_e32 v39, v40
	v_cmp_ngt_f32_e64 s[0:1], s2, v35
	v_cndmask_b32_e64 v37, 0, v37, s[0:1]
	v_cmp_nlt_f32_e64 s[0:1], s4, v35
	v_sub_f32_e32 v27, v27, v7
	v_cndmask_b32_e64 v43, v47, v37, s[0:1]
	v_ldexp_f32 v37, v38, v39
	v_mul_f32_e32 v38, 0x3fb8aa3b, v27
	v_fma_f32 v39, v27, s3, -v38
	v_rndne_f32_e32 v40, v38
	v_fmac_f32_e32 v39, 0x32a5705f, v27
	v_sub_f32_e32 v38, v38, v40
	v_add_f32_e32 v38, v38, v39
	v_exp_f32_e32 v38, v38
	v_cvt_i32_f32_e32 v39, v40
	v_cmp_ngt_f32_e64 s[0:1], s2, v32
	v_cndmask_b32_e64 v37, 0, v37, s[0:1]
	v_cmp_nlt_f32_e64 s[0:1], s4, v32
	v_sub_f32_e32 v36, v36, v7
	v_add_f32_e32 v35, v45, v43
	v_cndmask_b32_e64 v41, v47, v37, s[0:1]
	v_mul_f32_e32 v37, 0x3fb8aa3b, v36
	v_add_f32_e32 v32, v35, v41
	v_ldexp_f32 v35, v38, v39
	v_fma_f32 v38, v36, s3, -v37
	v_rndne_f32_e32 v39, v37
	v_fmac_f32_e32 v38, 0x32a5705f, v36
	v_sub_f32_e32 v37, v37, v39
	v_add_f32_e32 v37, v37, v38
	v_exp_f32_e32 v37, v37
	v_cvt_i32_f32_e32 v38, v39
	v_cmp_ngt_f32_e64 s[0:1], s2, v27
	v_cndmask_b32_e64 v35, 0, v35, s[0:1]
	v_cmp_nlt_f32_e64 s[0:1], s4, v27
	v_sub_f32_e32 v33, v33, v7
	v_cndmask_b32_e64 v40, v47, v35, s[0:1]
	v_mul_f32_e32 v35, 0x3fb8aa3b, v33
	v_add_f32_e32 v27, v32, v40
	v_ldexp_f32 v32, v37, v38
	v_fma_f32 v37, v33, s3, -v35
	v_rndne_f32_e32 v38, v35
	v_fmac_f32_e32 v37, 0x32a5705f, v33
	v_sub_f32_e32 v35, v35, v38
	v_add_f32_e32 v35, v35, v37
	v_exp_f32_e32 v35, v35
	v_cvt_i32_f32_e32 v37, v38
	v_cmp_ngt_f32_e64 s[0:1], s2, v36
	v_cndmask_b32_e64 v32, 0, v32, s[0:1]
	v_cmp_nlt_f32_e64 s[0:1], s4, v36
	v_sub_f32_e32 v29, v29, v7
	v_cndmask_b32_e64 v39, v47, v32, s[0:1]
	v_ldexp_f32 v32, v35, v37
	v_mul_f32_e32 v35, 0x3fb8aa3b, v29
	v_fma_f32 v36, v29, s3, -v35
	v_rndne_f32_e32 v37, v35
	v_fmac_f32_e32 v36, 0x32a5705f, v29
	v_sub_f32_e32 v35, v35, v37
	v_add_f32_e32 v35, v35, v36
	v_exp_f32_e32 v35, v35
	v_cvt_i32_f32_e32 v36, v37
	v_cmp_ngt_f32_e64 s[0:1], s2, v33
	v_sub_f32_e32 v11, v11, v7
	v_cndmask_b32_e64 v32, 0, v32, s[0:1]
	v_cmp_nlt_f32_e64 s[0:1], s4, v33
	v_mul_f32_e32 v33, 0x3fb8aa3b, v11
	v_cndmask_b32_e64 v38, v47, v32, s[0:1]
	v_ldexp_f32 v32, v35, v36
	v_fma_f32 v35, v11, s3, -v33
	v_rndne_f32_e32 v36, v33
	v_fmac_f32_e32 v35, 0x32a5705f, v11
	v_sub_f32_e32 v33, v33, v36
	v_add_f32_e32 v33, v33, v35
	v_exp_f32_e32 v33, v33
	v_cvt_i32_f32_e32 v35, v36
	v_cmp_ngt_f32_e64 s[0:1], s2, v29
	v_cndmask_b32_e64 v32, 0, v32, s[0:1]
	v_cmp_nlt_f32_e64 s[0:1], s4, v29
	v_cndmask_b32_e64 v37, v47, v32, s[0:1]
	v_sub_f32_e32 v32, v34, v7
	v_ldexp_f32 v29, v33, v35
	v_mul_f32_e32 v33, 0x3fb8aa3b, v32
	v_fma_f32 v34, v32, s3, -v33
	v_rndne_f32_e32 v35, v33
	v_fmac_f32_e32 v34, 0x32a5705f, v32
	v_sub_f32_e32 v33, v33, v35
	v_add_f32_e32 v33, v33, v34
	v_cmp_ngt_f32_e64 s[0:1], s2, v11
	v_exp_f32_e32 v33, v33
	v_cvt_i32_f32_e32 v34, v35
	v_add_f32_e32 v27, v27, v39
	v_cndmask_b32_e64 v29, 0, v29, s[0:1]
	v_cmp_nlt_f32_e64 s[0:1], s4, v11
	v_add_f32_e32 v27, v27, v38
	v_cndmask_b32_e64 v36, v47, v29, s[0:1]
	v_sub_f32_e32 v29, v30, v7
	v_add_f32_e32 v27, v27, v37
	v_mul_f32_e32 v30, 0x3fb8aa3b, v29
	v_add_f32_e32 v11, v27, v36
	v_ldexp_f32 v27, v33, v34
	v_fma_f32 v33, v29, s3, -v30
	v_rndne_f32_e32 v34, v30
	v_fmac_f32_e32 v33, 0x32a5705f, v29
	v_sub_f32_e32 v30, v30, v34
	v_add_f32_e32 v30, v30, v33
	v_exp_f32_e32 v30, v30
	v_cvt_i32_f32_e32 v33, v34
	v_cmp_ngt_f32_e64 s[0:1], s2, v32
	v_cndmask_b32_e64 v27, 0, v27, s[0:1]
	v_cmp_nlt_f32_e64 s[0:1], s4, v32
	v_sub_f32_e32 v25, v25, v7
	v_cndmask_b32_e64 v35, v47, v27, s[0:1]
	v_ldexp_f32 v27, v30, v33
	v_mul_f32_e32 v30, 0x3fb8aa3b, v25
	v_fma_f32 v32, v25, s3, -v30
	v_rndne_f32_e32 v33, v30
	v_fmac_f32_e32 v32, 0x32a5705f, v25
	v_sub_f32_e32 v30, v30, v33
	v_add_f32_e32 v30, v30, v32
	v_exp_f32_e32 v30, v30
	v_cvt_i32_f32_e32 v32, v33
	v_cmp_ngt_f32_e64 s[0:1], s2, v29
	v_sub_f32_e32 v21, v21, v7
	v_cndmask_b32_e64 v27, 0, v27, s[0:1]
	v_cmp_nlt_f32_e64 s[0:1], s4, v29
	v_mul_f32_e32 v29, 0x3fb8aa3b, v21
	v_cndmask_b32_e64 v34, v47, v27, s[0:1]
	v_ldexp_f32 v27, v30, v32
	v_fma_f32 v30, v21, s3, -v29
	v_rndne_f32_e32 v32, v29
	v_fmac_f32_e32 v30, 0x32a5705f, v21
	v_sub_f32_e32 v29, v29, v32
	v_add_f32_e32 v29, v29, v30
	v_exp_f32_e32 v29, v29
	v_cvt_i32_f32_e32 v30, v32
	v_cmp_ngt_f32_e64 s[0:1], s2, v25
	v_cndmask_b32_e64 v27, 0, v27, s[0:1]
	v_cmp_nlt_f32_e64 s[0:1], s4, v25
	v_cndmask_b32_e64 v33, v47, v27, s[0:1]
	v_sub_f32_e32 v27, v31, v7
	v_ldexp_f32 v25, v29, v30
	v_mul_f32_e32 v29, 0x3fb8aa3b, v27
	v_fma_f32 v30, v27, s3, -v29
	v_rndne_f32_e32 v31, v29
	v_fmac_f32_e32 v30, 0x32a5705f, v27
	v_sub_f32_e32 v29, v29, v31
	v_add_f32_e32 v29, v29, v30
	v_cmp_ngt_f32_e64 s[0:1], s2, v21
	v_exp_f32_e32 v29, v29
	v_cvt_i32_f32_e32 v30, v31
	v_cndmask_b32_e64 v25, 0, v25, s[0:1]
	v_cmp_nlt_f32_e64 s[0:1], s4, v21
	v_cndmask_b32_e64 v32, v47, v25, s[0:1]
	v_sub_f32_e32 v25, v26, v7
	v_mul_f32_e32 v26, 0x3fb8aa3b, v25
	v_ldexp_f32 v21, v29, v30
	v_fma_f32 v29, v25, s3, -v26
	v_rndne_f32_e32 v30, v26
	v_fmac_f32_e32 v29, 0x32a5705f, v25
	v_sub_f32_e32 v26, v26, v30
	v_add_f32_e32 v26, v26, v29
	v_exp_f32_e32 v26, v26
	v_cvt_i32_f32_e32 v29, v30
	v_cmp_ngt_f32_e64 s[0:1], s2, v27
	v_cndmask_b32_e64 v21, 0, v21, s[0:1]
	v_cmp_nlt_f32_e64 s[0:1], s4, v27
	v_sub_f32_e32 v22, v22, v7
	v_cndmask_b32_e64 v31, v47, v21, s[0:1]
	v_ldexp_f32 v21, v26, v29
	v_mul_f32_e32 v26, 0x3fb8aa3b, v22
	v_fma_f32 v27, v22, s3, -v26
	v_rndne_f32_e32 v29, v26
	v_fmac_f32_e32 v27, 0x32a5705f, v22
	v_sub_f32_e32 v26, v26, v29
	v_add_f32_e32 v26, v26, v27
	v_exp_f32_e32 v26, v26
	v_cvt_i32_f32_e32 v27, v29
	v_cmp_ngt_f32_e64 s[0:1], s2, v25
	v_sub_f32_e32 v8, v8, v7
	v_cndmask_b32_e64 v21, 0, v21, s[0:1]
	v_cmp_nlt_f32_e64 s[0:1], s4, v25
	v_mul_f32_e32 v25, 0x3fb8aa3b, v8
	v_cndmask_b32_e64 v30, v47, v21, s[0:1]
	v_ldexp_f32 v21, v26, v27
	v_fma_f32 v26, v8, s3, -v25
	v_rndne_f32_e32 v27, v25
	v_fmac_f32_e32 v26, 0x32a5705f, v8
	v_sub_f32_e32 v25, v25, v27
	v_add_f32_e32 v25, v25, v26
	v_exp_f32_e32 v25, v25
	v_cvt_i32_f32_e32 v26, v27
	v_cmp_ngt_f32_e64 s[0:1], s2, v22
	v_cndmask_b32_e64 v21, 0, v21, s[0:1]
	v_cmp_nlt_f32_e64 s[0:1], s4, v22
	v_sub_f32_e32 v22, v28, v7
	v_cndmask_b32_e64 v29, v47, v21, s[0:1]
	v_ldexp_f32 v21, v25, v26
	v_mul_f32_e32 v25, 0x3fb8aa3b, v22
	v_add_f32_e32 v11, v11, v35
	v_fma_f32 v26, v22, s3, -v25
	v_rndne_f32_e32 v27, v25
	v_add_f32_e32 v11, v11, v34
	v_fmac_f32_e32 v26, 0x32a5705f, v22
	v_sub_f32_e32 v25, v25, v27
	v_add_f32_e32 v11, v11, v33
	v_add_f32_e32 v25, v25, v26
	;; [unrolled: 1-line block ×3, first 2 shown]
	v_cmp_ngt_f32_e64 s[0:1], s2, v8
	v_exp_f32_e32 v25, v25
	v_cvt_i32_f32_e32 v26, v27
	v_add_f32_e32 v11, v11, v31
	v_cndmask_b32_e64 v21, 0, v21, s[0:1]
	v_cmp_nlt_f32_e64 s[0:1], s4, v8
	v_add_f32_e32 v11, v11, v30
	v_cndmask_b32_e64 v28, v47, v21, s[0:1]
	v_sub_f32_e32 v21, v23, v7
	v_add_f32_e32 v11, v11, v29
	v_mul_f32_e32 v23, 0x3fb8aa3b, v21
	v_add_f32_e32 v8, v11, v28
	v_ldexp_f32 v11, v25, v26
	v_fma_f32 v25, v21, s3, -v23
	v_rndne_f32_e32 v26, v23
	v_fmac_f32_e32 v25, 0x32a5705f, v21
	v_sub_f32_e32 v23, v23, v26
	v_add_f32_e32 v23, v23, v25
	v_exp_f32_e32 v23, v23
	v_cvt_i32_f32_e32 v25, v26
	v_cmp_ngt_f32_e64 s[0:1], s2, v22
	v_sub_f32_e32 v19, v19, v7
	v_cndmask_b32_e64 v11, 0, v11, s[0:1]
	v_cmp_nlt_f32_e64 s[0:1], s4, v22
	v_mul_f32_e32 v22, 0x3fb8aa3b, v19
	v_cndmask_b32_e64 v27, v47, v11, s[0:1]
	v_ldexp_f32 v11, v23, v25
	v_fma_f32 v23, v19, s3, -v22
	v_rndne_f32_e32 v25, v22
	v_fmac_f32_e32 v23, 0x32a5705f, v19
	v_sub_f32_e32 v22, v22, v25
	v_add_f32_e32 v22, v22, v23
	v_exp_f32_e32 v22, v22
	v_cvt_i32_f32_e32 v23, v25
	v_cmp_ngt_f32_e64 s[0:1], s2, v21
	v_sub_f32_e32 v16, v16, v7
	v_cndmask_b32_e64 v11, 0, v11, s[0:1]
	v_cmp_nlt_f32_e64 s[0:1], s4, v21
	v_mul_f32_e32 v21, 0x3fb8aa3b, v16
	v_cndmask_b32_e64 v26, v47, v11, s[0:1]
	v_ldexp_f32 v11, v22, v23
	v_fma_f32 v22, v16, s3, -v21
	v_rndne_f32_e32 v23, v21
	v_fmac_f32_e32 v22, 0x32a5705f, v16
	v_sub_f32_e32 v21, v21, v23
	v_add_f32_e32 v21, v21, v22
	v_exp_f32_e32 v21, v21
	v_cvt_i32_f32_e32 v22, v23
	v_cmp_ngt_f32_e64 s[0:1], s2, v19
	v_cndmask_b32_e64 v11, 0, v11, s[0:1]
	v_cmp_nlt_f32_e64 s[0:1], s4, v19
	v_sub_f32_e32 v19, v24, v7
	v_cndmask_b32_e64 v25, v47, v11, s[0:1]
	v_ldexp_f32 v11, v21, v22
	v_mul_f32_e32 v21, 0x3fb8aa3b, v19
	v_fma_f32 v22, v19, s3, -v21
	v_rndne_f32_e32 v23, v21
	v_fmac_f32_e32 v22, 0x32a5705f, v19
	v_sub_f32_e32 v21, v21, v23
	v_add_f32_e32 v21, v21, v22
	v_exp_f32_e32 v21, v21
	v_cvt_i32_f32_e32 v22, v23
	v_cmp_ngt_f32_e64 s[0:1], s2, v16
	v_cndmask_b32_e64 v11, 0, v11, s[0:1]
	v_cmp_nlt_f32_e64 s[0:1], s4, v16
	v_sub_f32_e32 v16, v20, v7
	v_mul_f32_e32 v20, 0x3fb8aa3b, v16
	v_cndmask_b32_e64 v24, v47, v11, s[0:1]
	v_ldexp_f32 v11, v21, v22
	v_fma_f32 v21, v16, s3, -v20
	v_rndne_f32_e32 v22, v20
	v_fmac_f32_e32 v21, 0x32a5705f, v16
	v_sub_f32_e32 v20, v20, v22
	v_add_f32_e32 v20, v20, v21
	v_exp_f32_e32 v20, v20
	v_cvt_i32_f32_e32 v21, v22
	v_cmp_ngt_f32_e64 s[0:1], s2, v19
	v_sub_f32_e32 v17, v17, v7
	v_cndmask_b32_e64 v11, 0, v11, s[0:1]
	v_cmp_nlt_f32_e64 s[0:1], s4, v19
	v_mul_f32_e32 v19, 0x3fb8aa3b, v17
	v_cndmask_b32_e64 v23, v47, v11, s[0:1]
	v_ldexp_f32 v11, v20, v21
	v_fma_f32 v20, v17, s3, -v19
	v_rndne_f32_e32 v21, v19
	v_fmac_f32_e32 v20, 0x32a5705f, v17
	v_sub_f32_e32 v19, v19, v21
	v_add_f32_e32 v19, v19, v20
	v_exp_f32_e32 v19, v19
	v_cvt_i32_f32_e32 v20, v21
	v_cmp_ngt_f32_e64 s[0:1], s2, v16
	v_sub_f32_e32 v1, v1, v7
	v_cndmask_b32_e64 v11, 0, v11, s[0:1]
	v_cmp_nlt_f32_e64 s[0:1], s4, v16
	v_mul_f32_e32 v16, 0x3fb8aa3b, v1
	v_cndmask_b32_e64 v22, v47, v11, s[0:1]
	v_ldexp_f32 v11, v19, v20
	v_fma_f32 v19, v1, s3, -v16
	v_rndne_f32_e32 v20, v16
	v_fmac_f32_e32 v19, 0x32a5705f, v1
	v_sub_f32_e32 v16, v16, v20
	v_add_f32_e32 v16, v16, v19
	v_exp_f32_e32 v16, v16
	v_cvt_i32_f32_e32 v19, v20
	v_cmp_ngt_f32_e64 s[0:1], s2, v17
	v_cndmask_b32_e64 v11, 0, v11, s[0:1]
	v_cmp_nlt_f32_e64 s[0:1], s4, v17
	v_cndmask_b32_e64 v21, v47, v11, s[0:1]
	v_ldexp_f32 v11, v16, v19
	v_sub_f32_e32 v16, v42, v7
	v_mul_f32_e32 v17, 0x3fb8aa3b, v16
	v_add_f32_e32 v8, v8, v27
	v_fma_f32 v19, v16, s3, -v17
	v_rndne_f32_e32 v20, v17
	v_add_f32_e32 v8, v8, v26
	v_fmac_f32_e32 v19, 0x32a5705f, v16
	v_sub_f32_e32 v17, v17, v20
	v_add_f32_e32 v8, v8, v25
	v_add_f32_e32 v17, v17, v19
	;; [unrolled: 1-line block ×3, first 2 shown]
	v_exp_f32_e32 v17, v17
	v_cvt_i32_f32_e32 v19, v20
	v_add_f32_e32 v8, v8, v23
	v_cmp_ngt_f32_e64 s[0:1], s2, v1
	v_add_f32_e32 v8, v8, v22
	v_cndmask_b32_e64 v11, 0, v11, s[0:1]
	v_cmp_nlt_f32_e64 s[0:1], s4, v1
	v_add_f32_e32 v8, v8, v21
	v_cndmask_b32_e64 v20, v47, v11, s[0:1]
	v_sub_f32_e32 v11, v18, v7
	v_add_f32_e32 v1, v8, v20
	v_ldexp_f32 v8, v17, v19
	v_mul_f32_e32 v17, 0x3fb8aa3b, v11
	v_fma_f32 v18, v11, s3, -v17
	v_rndne_f32_e32 v19, v17
	v_fmac_f32_e32 v18, 0x32a5705f, v11
	v_sub_f32_e32 v17, v17, v19
	v_add_f32_e32 v17, v17, v18
	v_exp_f32_e32 v17, v17
	v_cvt_i32_f32_e32 v18, v19
	v_cmp_ngt_f32_e64 s[0:1], s2, v16
	v_sub_f32_e32 v14, v14, v7
	v_cndmask_b32_e64 v8, 0, v8, s[0:1]
	v_cmp_nlt_f32_e64 s[0:1], s4, v16
	v_mul_f32_e32 v16, 0x3fb8aa3b, v14
	v_cndmask_b32_e64 v19, v47, v8, s[0:1]
	v_ldexp_f32 v8, v17, v18
	v_fma_f32 v17, v14, s3, -v16
	v_rndne_f32_e32 v18, v16
	v_fmac_f32_e32 v17, 0x32a5705f, v14
	v_sub_f32_e32 v16, v16, v18
	v_add_f32_e32 v16, v16, v17
	v_exp_f32_e32 v16, v16
	v_cvt_i32_f32_e32 v17, v18
	v_cmp_ngt_f32_e64 s[0:1], s2, v11
	v_cndmask_b32_e64 v8, 0, v8, s[0:1]
	v_cmp_nlt_f32_e64 s[0:1], s4, v11
	v_sub_f32_e32 v11, v12, v7
	v_mul_f32_e32 v12, 0x3fb8aa3b, v11
	v_cndmask_b32_e64 v18, v47, v8, s[0:1]
	v_ldexp_f32 v8, v16, v17
	v_fma_f32 v16, v11, s3, -v12
	v_rndne_f32_e32 v17, v12
	v_fmac_f32_e32 v16, 0x32a5705f, v11
	v_sub_f32_e32 v12, v12, v17
	v_add_f32_e32 v12, v12, v16
	v_exp_f32_e32 v12, v12
	v_cvt_i32_f32_e32 v16, v17
	v_cmp_ngt_f32_e64 s[0:1], s2, v14
	v_add_f32_e32 v1, v1, v19
	v_cndmask_b32_e64 v8, 0, v8, s[0:1]
	v_cmp_nlt_f32_e64 s[0:1], s4, v14
	v_add_f32_e32 v1, v1, v18
	v_cndmask_b32_e64 v17, v47, v8, s[0:1]
	v_sub_f32_e32 v9, v9, v7
	v_add_f32_e32 v8, v1, v17
	v_ldexp_f32 v1, v12, v16
	v_mul_f32_e32 v12, 0x3fb8aa3b, v9
	v_fma_f32 v14, v9, s3, -v12
	v_rndne_f32_e32 v16, v12
	v_fmac_f32_e32 v14, 0x32a5705f, v9
	v_sub_f32_e32 v12, v12, v16
	v_add_f32_e32 v12, v12, v14
	v_exp_f32_e32 v12, v12
	v_cvt_i32_f32_e32 v14, v16
	v_cmp_ngt_f32_e64 s[0:1], s2, v11
	v_cndmask_b32_e64 v1, 0, v1, s[0:1]
	v_cmp_nlt_f32_e64 s[0:1], s4, v11
	v_ldexp_f32 v11, v12, v14
	v_sub_f32_e32 v12, v15, v7
	v_mul_f32_e32 v14, 0x3fb8aa3b, v12
	v_fma_f32 v15, v12, s3, -v14
	v_rndne_f32_e32 v16, v14
	v_fmac_f32_e32 v15, 0x32a5705f, v12
	v_sub_f32_e32 v14, v14, v16
	v_add_f32_e32 v14, v14, v15
	v_cndmask_b32_e64 v1, v47, v1, s[0:1]
	v_cmp_ngt_f32_e64 s[0:1], s2, v9
	v_exp_f32_e32 v14, v14
	v_cvt_i32_f32_e32 v15, v16
	v_cndmask_b32_e64 v11, 0, v11, s[0:1]
	v_cmp_nlt_f32_e64 s[0:1], s4, v9
	v_cndmask_b32_e64 v16, v47, v11, s[0:1]
	v_sub_f32_e32 v11, v13, v7
	v_mul_f32_e32 v13, 0x3fb8aa3b, v11
	v_ldexp_f32 v9, v14, v15
	v_fma_f32 v14, v11, s3, -v13
	v_rndne_f32_e32 v15, v13
	v_fmac_f32_e32 v14, 0x32a5705f, v11
	v_sub_f32_e32 v13, v13, v15
	v_add_f32_e32 v13, v13, v14
	v_exp_f32_e32 v13, v13
	v_cvt_i32_f32_e32 v14, v15
	v_cmp_ngt_f32_e64 s[0:1], s2, v12
	v_sub_f32_e32 v10, v10, v7
	v_cndmask_b32_e64 v9, 0, v9, s[0:1]
	v_cmp_nlt_f32_e64 s[0:1], s4, v12
	v_mul_f32_e32 v12, 0x3fb8aa3b, v10
	v_cndmask_b32_e64 v15, v47, v9, s[0:1]
	v_ldexp_f32 v9, v13, v14
	v_fma_f32 v13, v10, s3, -v12
	v_rndne_f32_e32 v14, v12
	v_fmac_f32_e32 v13, 0x32a5705f, v10
	v_sub_f32_e32 v12, v12, v14
	v_add_f32_e32 v12, v12, v13
	v_exp_f32_e32 v12, v12
	v_cvt_i32_f32_e32 v13, v14
	v_cmp_ngt_f32_e64 s[0:1], s2, v11
	v_add_f32_e32 v8, v8, v1
	v_cndmask_b32_e64 v9, 0, v9, s[0:1]
	v_cmp_nlt_f32_e64 s[0:1], s4, v11
	v_add_f32_e32 v8, v8, v16
	v_cndmask_b32_e64 v14, v47, v9, s[0:1]
	v_ldexp_f32 v9, v12, v13
	v_cmp_ngt_f32_e64 s[0:1], s2, v10
	v_add_f32_e32 v8, v8, v15
	v_cndmask_b32_e64 v9, 0, v9, s[0:1]
	v_cmp_nlt_f32_e64 s[0:1], s4, v10
	v_add_f32_e32 v8, v8, v14
	v_cndmask_b32_e64 v12, v47, v9, s[0:1]
	v_add_f32_e32 v8, v8, v12
	ds_bpermute_b32 v4, v4, v8
	v_cmp_gt_i32_e64 s[0:1], s14, v0
	s_and_b64 s[0:1], vcc, s[0:1]
	s_waitcnt lgkmcnt(0)
	v_add_f32_e32 v4, v8, v4
	ds_bpermute_b32 v5, v5, v4
	s_waitcnt lgkmcnt(0)
	v_add_f32_e32 v4, v4, v5
	ds_bpermute_b32 v5, v6, v4
	;; [unrolled: 3-line block ×4, first 2 shown]
	s_and_saveexec_b64 s[2:3], s[0:1]
	s_cbranch_execz .LBB21_221
; %bb.21:
	s_mov_b32 s0, 0xc61c4000
	v_cmp_neq_f32_e64 s[0:1], s0, v7
	s_waitcnt lgkmcnt(0)
	v_add_f32_e32 v13, v4, v5
	v_pk_mov_b32 v[4:5], 0, 0
	s_and_saveexec_b64 s[2:3], s[0:1]
	s_cbranch_execnz .LBB21_25
; %bb.22:
	s_or_b64 exec, exec, s[2:3]
	v_pk_mov_b32 v[6:7], 0, 0
	s_and_saveexec_b64 s[2:3], s[0:1]
	s_cbranch_execnz .LBB21_30
.LBB21_23:
	s_or_b64 exec, exec, s[2:3]
	v_pk_mov_b32 v[8:9], 0, 0
	s_and_saveexec_b64 s[2:3], s[0:1]
	s_cbranch_execnz .LBB21_35
.LBB21_24:
	s_or_b64 exec, exec, s[2:3]
	v_pk_mov_b32 v[10:11], 0, 0
	s_and_saveexec_b64 s[2:3], s[0:1]
	s_cbranch_execnz .LBB21_40
	s_branch .LBB21_45
.LBB21_25:
	v_div_scale_f32 v4, s[4:5], v13, v13, v45
	v_rcp_f32_e32 v5, v4
	v_div_scale_f32 v6, vcc, v45, v13, v45
	s_mov_b32 s4, 0x7f800000
	v_fma_f32 v7, -v4, v5, 1.0
	v_fmac_f32_e32 v5, v7, v5
	v_mul_f32_e32 v7, v6, v5
	v_fma_f32 v8, -v4, v7, v6
	v_fmac_f32_e32 v7, v8, v5
	v_fma_f32 v4, -v4, v7, v6
	v_div_fmas_f32 v4, v4, v5, v7
	v_div_fixup_f32 v4, v4, v13, v45
	v_and_b32_e32 v5, 0x7f800000, v4
	v_cmp_ne_u32_e32 vcc, s4, v5
                                        ; implicit-def: $vgpr5
	s_and_saveexec_b64 s[4:5], vcc
	s_xor_b64 s[4:5], exec, s[4:5]
; %bb.26:
	v_bfe_u32 v5, v4, 16, 1
	s_movk_i32 s6, 0x7fff
	v_add3_u32 v5, v4, v5, s6
                                        ; implicit-def: $vgpr4
; %bb.27:
	s_andn2_saveexec_b64 s[4:5], s[4:5]
; %bb.28:
	v_mov_b32_e32 v5, 0
	v_or_b32_e32 v6, 0x10000, v4
	v_cmp_eq_u32_sdwa vcc, v4, v5 src0_sel:WORD_0 src1_sel:DWORD
	v_cndmask_b32_e32 v5, v6, v4, vcc
; %bb.29:
	s_or_b64 exec, exec, s[4:5]
	v_lshrrev_b32_e32 v4, 16, v5
	v_mov_b32_e32 v5, 0
	s_or_b64 exec, exec, s[2:3]
	v_pk_mov_b32 v[6:7], 0, 0
	s_and_saveexec_b64 s[2:3], s[0:1]
	s_cbranch_execz .LBB21_23
.LBB21_30:
	v_div_scale_f32 v6, s[4:5], v13, v13, v43
	v_rcp_f32_e32 v7, v6
	v_div_scale_f32 v8, vcc, v43, v13, v43
	s_mov_b32 s4, 0x7f800000
	v_fma_f32 v9, -v6, v7, 1.0
	v_fmac_f32_e32 v7, v9, v7
	v_mul_f32_e32 v9, v8, v7
	v_fma_f32 v10, -v6, v9, v8
	v_fmac_f32_e32 v9, v10, v7
	v_fma_f32 v6, -v6, v9, v8
	v_div_fmas_f32 v6, v6, v7, v9
	v_div_fixup_f32 v6, v6, v13, v43
	v_and_b32_e32 v7, 0x7f800000, v6
	v_cmp_ne_u32_e32 vcc, s4, v7
                                        ; implicit-def: $vgpr7
	s_and_saveexec_b64 s[4:5], vcc
	s_xor_b64 s[4:5], exec, s[4:5]
; %bb.31:
	v_bfe_u32 v7, v6, 16, 1
	s_movk_i32 s6, 0x7fff
	v_add3_u32 v7, v6, v7, s6
                                        ; implicit-def: $vgpr6
; %bb.32:
	s_andn2_saveexec_b64 s[4:5], s[4:5]
; %bb.33:
	v_mov_b32_e32 v7, 0
	v_or_b32_e32 v8, 0x10000, v6
	v_cmp_eq_u32_sdwa vcc, v6, v7 src0_sel:WORD_0 src1_sel:DWORD
	v_cndmask_b32_e32 v7, v8, v6, vcc
; %bb.34:
	s_or_b64 exec, exec, s[4:5]
	v_lshrrev_b32_e32 v6, 16, v7
	s_or_b64 exec, exec, s[2:3]
	v_pk_mov_b32 v[8:9], 0, 0
	s_and_saveexec_b64 s[2:3], s[0:1]
	s_cbranch_execz .LBB21_24
.LBB21_35:
	v_div_scale_f32 v7, s[4:5], v13, v13, v41
	v_rcp_f32_e32 v8, v7
	v_div_scale_f32 v9, vcc, v41, v13, v41
	s_mov_b32 s4, 0x7f800000
	v_fma_f32 v10, -v7, v8, 1.0
	v_fmac_f32_e32 v8, v10, v8
	v_mul_f32_e32 v10, v9, v8
	v_fma_f32 v11, -v7, v10, v9
	v_fmac_f32_e32 v10, v11, v8
	v_fma_f32 v7, -v7, v10, v9
	v_div_fmas_f32 v7, v7, v8, v10
	v_div_fixup_f32 v7, v7, v13, v41
	v_and_b32_e32 v8, 0x7f800000, v7
	v_cmp_ne_u32_e32 vcc, s4, v8
                                        ; implicit-def: $vgpr8
	s_and_saveexec_b64 s[4:5], vcc
	s_xor_b64 s[4:5], exec, s[4:5]
; %bb.36:
	v_bfe_u32 v8, v7, 16, 1
	s_movk_i32 s6, 0x7fff
	v_add3_u32 v8, v7, v8, s6
                                        ; implicit-def: $vgpr7
; %bb.37:
	s_andn2_saveexec_b64 s[4:5], s[4:5]
; %bb.38:
	v_mov_b32_e32 v8, 0
	v_or_b32_e32 v9, 0x10000, v7
	v_cmp_eq_u32_sdwa vcc, v7, v8 src0_sel:WORD_0 src1_sel:DWORD
	v_cndmask_b32_e32 v8, v9, v7, vcc
; %bb.39:
	s_or_b64 exec, exec, s[4:5]
	v_lshrrev_b32_e32 v8, 16, v8
	s_or_b64 exec, exec, s[2:3]
	v_pk_mov_b32 v[10:11], 0, 0
	s_and_saveexec_b64 s[2:3], s[0:1]
	s_cbranch_execz .LBB21_45
.LBB21_40:
	v_div_scale_f32 v7, s[4:5], v13, v13, v40
	v_rcp_f32_e32 v9, v7
	v_div_scale_f32 v10, vcc, v40, v13, v40
	s_mov_b32 s4, 0x7f800000
	v_fma_f32 v11, -v7, v9, 1.0
	v_fmac_f32_e32 v9, v11, v9
	v_mul_f32_e32 v11, v10, v9
	v_fma_f32 v41, -v7, v11, v10
	v_fmac_f32_e32 v11, v41, v9
	v_fma_f32 v7, -v7, v11, v10
	v_div_fmas_f32 v7, v7, v9, v11
	v_div_fixup_f32 v7, v7, v13, v40
	v_and_b32_e32 v9, 0x7f800000, v7
	v_cmp_ne_u32_e32 vcc, s4, v9
                                        ; implicit-def: $vgpr9
	s_and_saveexec_b64 s[4:5], vcc
	s_xor_b64 s[4:5], exec, s[4:5]
; %bb.41:
	v_bfe_u32 v9, v7, 16, 1
	s_movk_i32 s6, 0x7fff
	v_add3_u32 v9, v7, v9, s6
                                        ; implicit-def: $vgpr7
; %bb.42:
	s_andn2_saveexec_b64 s[4:5], s[4:5]
; %bb.43:
	v_mov_b32_e32 v9, 0
	v_or_b32_e32 v10, 0x10000, v7
	v_cmp_eq_u32_sdwa vcc, v7, v9 src0_sel:WORD_0 src1_sel:DWORD
	v_cndmask_b32_e32 v9, v10, v7, vcc
; %bb.44:
	s_or_b64 exec, exec, s[4:5]
	v_lshrrev_b32_e32 v10, 16, v9
.LBB21_45:
	s_or_b64 exec, exec, s[2:3]
	v_mov_b32_e32 v7, s17
	v_add_co_u32_e32 v2, vcc, s16, v2
	v_addc_co_u32_e32 v3, vcc, v7, v3, vcc
	v_lshlrev_b32_e32 v9, 16, v10
	v_mov_b32_e32 v7, v8
	v_or_b32_e32 v7, v9, v7
	v_lshlrev_b32_e32 v6, 16, v6
	v_or_b32_e32 v5, v7, v5
	v_or_b32_e32 v4, v6, v4
	global_store_dwordx2 v[2:3], v[4:5], off
	v_add_u32_e32 v4, 0x80, v0
	v_cmp_gt_u32_e32 vcc, s14, v4
	s_and_b64 exec, exec, vcc
	s_cbranch_execz .LBB21_221
; %bb.46:
	v_pk_mov_b32 v[4:5], 0, 0
	s_and_saveexec_b64 s[2:3], s[0:1]
	s_cbranch_execnz .LBB21_50
; %bb.47:
	s_or_b64 exec, exec, s[2:3]
	v_pk_mov_b32 v[6:7], 0, 0
	s_and_saveexec_b64 s[2:3], s[0:1]
	s_cbranch_execnz .LBB21_55
.LBB21_48:
	s_or_b64 exec, exec, s[2:3]
	v_pk_mov_b32 v[8:9], 0, 0
	s_and_saveexec_b64 s[2:3], s[0:1]
	s_cbranch_execnz .LBB21_60
.LBB21_49:
	s_or_b64 exec, exec, s[2:3]
	v_pk_mov_b32 v[10:11], 0, 0
	s_and_saveexec_b64 s[2:3], s[0:1]
	s_cbranch_execnz .LBB21_65
	s_branch .LBB21_70
.LBB21_50:
	v_div_scale_f32 v4, s[4:5], v13, v13, v39
	v_rcp_f32_e32 v5, v4
	v_div_scale_f32 v6, vcc, v39, v13, v39
	s_mov_b32 s4, 0x7f800000
	v_fma_f32 v7, -v4, v5, 1.0
	v_fmac_f32_e32 v5, v7, v5
	v_mul_f32_e32 v7, v6, v5
	v_fma_f32 v8, -v4, v7, v6
	v_fmac_f32_e32 v7, v8, v5
	v_fma_f32 v4, -v4, v7, v6
	v_div_fmas_f32 v4, v4, v5, v7
	v_div_fixup_f32 v4, v4, v13, v39
	v_and_b32_e32 v5, 0x7f800000, v4
	v_cmp_ne_u32_e32 vcc, s4, v5
                                        ; implicit-def: $vgpr5
	s_and_saveexec_b64 s[4:5], vcc
	s_xor_b64 s[4:5], exec, s[4:5]
; %bb.51:
	v_bfe_u32 v5, v4, 16, 1
	s_movk_i32 s6, 0x7fff
	v_add3_u32 v5, v4, v5, s6
                                        ; implicit-def: $vgpr4
; %bb.52:
	s_andn2_saveexec_b64 s[4:5], s[4:5]
; %bb.53:
	v_mov_b32_e32 v5, 0
	v_or_b32_e32 v6, 0x10000, v4
	v_cmp_eq_u32_sdwa vcc, v4, v5 src0_sel:WORD_0 src1_sel:DWORD
	v_cndmask_b32_e32 v5, v6, v4, vcc
; %bb.54:
	s_or_b64 exec, exec, s[4:5]
	v_lshrrev_b32_e32 v4, 16, v5
	v_mov_b32_e32 v5, 0
	s_or_b64 exec, exec, s[2:3]
	v_pk_mov_b32 v[6:7], 0, 0
	s_and_saveexec_b64 s[2:3], s[0:1]
	s_cbranch_execz .LBB21_48
.LBB21_55:
	v_div_scale_f32 v6, s[4:5], v13, v13, v38
	v_rcp_f32_e32 v7, v6
	v_div_scale_f32 v8, vcc, v38, v13, v38
	s_mov_b32 s4, 0x7f800000
	v_fma_f32 v9, -v6, v7, 1.0
	v_fmac_f32_e32 v7, v9, v7
	v_mul_f32_e32 v9, v8, v7
	v_fma_f32 v10, -v6, v9, v8
	v_fmac_f32_e32 v9, v10, v7
	v_fma_f32 v6, -v6, v9, v8
	v_div_fmas_f32 v6, v6, v7, v9
	v_div_fixup_f32 v6, v6, v13, v38
	v_and_b32_e32 v7, 0x7f800000, v6
	v_cmp_ne_u32_e32 vcc, s4, v7
                                        ; implicit-def: $vgpr7
	s_and_saveexec_b64 s[4:5], vcc
	s_xor_b64 s[4:5], exec, s[4:5]
; %bb.56:
	v_bfe_u32 v7, v6, 16, 1
	s_movk_i32 s6, 0x7fff
	v_add3_u32 v7, v6, v7, s6
                                        ; implicit-def: $vgpr6
; %bb.57:
	s_andn2_saveexec_b64 s[4:5], s[4:5]
; %bb.58:
	v_mov_b32_e32 v7, 0
	v_or_b32_e32 v8, 0x10000, v6
	v_cmp_eq_u32_sdwa vcc, v6, v7 src0_sel:WORD_0 src1_sel:DWORD
	v_cndmask_b32_e32 v7, v8, v6, vcc
; %bb.59:
	s_or_b64 exec, exec, s[4:5]
	v_lshrrev_b32_e32 v6, 16, v7
	s_or_b64 exec, exec, s[2:3]
	v_pk_mov_b32 v[8:9], 0, 0
	s_and_saveexec_b64 s[2:3], s[0:1]
	s_cbranch_execz .LBB21_49
.LBB21_60:
	v_div_scale_f32 v7, s[4:5], v13, v13, v37
	v_rcp_f32_e32 v8, v7
	v_div_scale_f32 v9, vcc, v37, v13, v37
	s_mov_b32 s4, 0x7f800000
	v_fma_f32 v10, -v7, v8, 1.0
	v_fmac_f32_e32 v8, v10, v8
	v_mul_f32_e32 v10, v9, v8
	v_fma_f32 v11, -v7, v10, v9
	v_fmac_f32_e32 v10, v11, v8
	v_fma_f32 v7, -v7, v10, v9
	v_div_fmas_f32 v7, v7, v8, v10
	v_div_fixup_f32 v7, v7, v13, v37
	v_and_b32_e32 v8, 0x7f800000, v7
	v_cmp_ne_u32_e32 vcc, s4, v8
                                        ; implicit-def: $vgpr8
	s_and_saveexec_b64 s[4:5], vcc
	s_xor_b64 s[4:5], exec, s[4:5]
; %bb.61:
	v_bfe_u32 v8, v7, 16, 1
	s_movk_i32 s6, 0x7fff
	v_add3_u32 v8, v7, v8, s6
                                        ; implicit-def: $vgpr7
; %bb.62:
	s_andn2_saveexec_b64 s[4:5], s[4:5]
; %bb.63:
	v_mov_b32_e32 v8, 0
	v_or_b32_e32 v9, 0x10000, v7
	v_cmp_eq_u32_sdwa vcc, v7, v8 src0_sel:WORD_0 src1_sel:DWORD
	v_cndmask_b32_e32 v8, v9, v7, vcc
; %bb.64:
	s_or_b64 exec, exec, s[4:5]
	v_lshrrev_b32_e32 v8, 16, v8
	s_or_b64 exec, exec, s[2:3]
	v_pk_mov_b32 v[10:11], 0, 0
	s_and_saveexec_b64 s[2:3], s[0:1]
	s_cbranch_execz .LBB21_70
.LBB21_65:
	v_div_scale_f32 v7, s[4:5], v13, v13, v36
	v_rcp_f32_e32 v9, v7
	v_div_scale_f32 v10, vcc, v36, v13, v36
	s_mov_b32 s4, 0x7f800000
	v_fma_f32 v11, -v7, v9, 1.0
	v_fmac_f32_e32 v9, v11, v9
	v_mul_f32_e32 v11, v10, v9
	v_fma_f32 v37, -v7, v11, v10
	v_fmac_f32_e32 v11, v37, v9
	v_fma_f32 v7, -v7, v11, v10
	v_div_fmas_f32 v7, v7, v9, v11
	v_div_fixup_f32 v7, v7, v13, v36
	v_and_b32_e32 v9, 0x7f800000, v7
	v_cmp_ne_u32_e32 vcc, s4, v9
                                        ; implicit-def: $vgpr9
	s_and_saveexec_b64 s[4:5], vcc
	s_xor_b64 s[4:5], exec, s[4:5]
; %bb.66:
	v_bfe_u32 v9, v7, 16, 1
	s_movk_i32 s6, 0x7fff
	v_add3_u32 v9, v7, v9, s6
                                        ; implicit-def: $vgpr7
; %bb.67:
	s_andn2_saveexec_b64 s[4:5], s[4:5]
; %bb.68:
	v_mov_b32_e32 v9, 0
	v_or_b32_e32 v10, 0x10000, v7
	v_cmp_eq_u32_sdwa vcc, v7, v9 src0_sel:WORD_0 src1_sel:DWORD
	v_cndmask_b32_e32 v9, v10, v7, vcc
; %bb.69:
	s_or_b64 exec, exec, s[4:5]
	v_lshrrev_b32_e32 v10, 16, v9
.LBB21_70:
	s_or_b64 exec, exec, s[2:3]
	v_lshlrev_b32_e32 v9, 16, v10
	v_mov_b32_e32 v7, v8
	v_or_b32_e32 v7, v9, v7
	v_lshlrev_b32_e32 v6, 16, v6
	v_or_b32_e32 v5, v7, v5
	v_or_b32_e32 v4, v6, v4
	global_store_dwordx2 v[2:3], v[4:5], off offset:256
	v_add_u32_e32 v4, 0x100, v0
	v_cmp_gt_u32_e32 vcc, s14, v4
	s_and_b64 exec, exec, vcc
	s_cbranch_execz .LBB21_221
; %bb.71:
	v_pk_mov_b32 v[4:5], 0, 0
	s_and_saveexec_b64 s[2:3], s[0:1]
	s_cbranch_execnz .LBB21_75
; %bb.72:
	s_or_b64 exec, exec, s[2:3]
	v_pk_mov_b32 v[6:7], 0, 0
	s_and_saveexec_b64 s[2:3], s[0:1]
	s_cbranch_execnz .LBB21_80
.LBB21_73:
	s_or_b64 exec, exec, s[2:3]
	v_pk_mov_b32 v[8:9], 0, 0
	s_and_saveexec_b64 s[2:3], s[0:1]
	s_cbranch_execnz .LBB21_85
.LBB21_74:
	s_or_b64 exec, exec, s[2:3]
	v_pk_mov_b32 v[10:11], 0, 0
	s_and_saveexec_b64 s[2:3], s[0:1]
	s_cbranch_execnz .LBB21_90
	s_branch .LBB21_95
.LBB21_75:
	v_div_scale_f32 v4, s[4:5], v13, v13, v35
	v_rcp_f32_e32 v5, v4
	v_div_scale_f32 v6, vcc, v35, v13, v35
	s_mov_b32 s4, 0x7f800000
	v_fma_f32 v7, -v4, v5, 1.0
	v_fmac_f32_e32 v5, v7, v5
	v_mul_f32_e32 v7, v6, v5
	v_fma_f32 v8, -v4, v7, v6
	v_fmac_f32_e32 v7, v8, v5
	v_fma_f32 v4, -v4, v7, v6
	v_div_fmas_f32 v4, v4, v5, v7
	v_div_fixup_f32 v4, v4, v13, v35
	v_and_b32_e32 v5, 0x7f800000, v4
	v_cmp_ne_u32_e32 vcc, s4, v5
                                        ; implicit-def: $vgpr5
	s_and_saveexec_b64 s[4:5], vcc
	s_xor_b64 s[4:5], exec, s[4:5]
; %bb.76:
	v_bfe_u32 v5, v4, 16, 1
	s_movk_i32 s6, 0x7fff
	v_add3_u32 v5, v4, v5, s6
                                        ; implicit-def: $vgpr4
; %bb.77:
	s_andn2_saveexec_b64 s[4:5], s[4:5]
; %bb.78:
	v_mov_b32_e32 v5, 0
	v_or_b32_e32 v6, 0x10000, v4
	v_cmp_eq_u32_sdwa vcc, v4, v5 src0_sel:WORD_0 src1_sel:DWORD
	v_cndmask_b32_e32 v5, v6, v4, vcc
; %bb.79:
	s_or_b64 exec, exec, s[4:5]
	v_lshrrev_b32_e32 v4, 16, v5
	v_mov_b32_e32 v5, 0
	s_or_b64 exec, exec, s[2:3]
	v_pk_mov_b32 v[6:7], 0, 0
	s_and_saveexec_b64 s[2:3], s[0:1]
	s_cbranch_execz .LBB21_73
.LBB21_80:
	v_div_scale_f32 v6, s[4:5], v13, v13, v34
	v_rcp_f32_e32 v7, v6
	v_div_scale_f32 v8, vcc, v34, v13, v34
	s_mov_b32 s4, 0x7f800000
	v_fma_f32 v9, -v6, v7, 1.0
	v_fmac_f32_e32 v7, v9, v7
	v_mul_f32_e32 v9, v8, v7
	v_fma_f32 v10, -v6, v9, v8
	v_fmac_f32_e32 v9, v10, v7
	v_fma_f32 v6, -v6, v9, v8
	v_div_fmas_f32 v6, v6, v7, v9
	v_div_fixup_f32 v6, v6, v13, v34
	v_and_b32_e32 v7, 0x7f800000, v6
	v_cmp_ne_u32_e32 vcc, s4, v7
                                        ; implicit-def: $vgpr7
	s_and_saveexec_b64 s[4:5], vcc
	s_xor_b64 s[4:5], exec, s[4:5]
; %bb.81:
	v_bfe_u32 v7, v6, 16, 1
	s_movk_i32 s6, 0x7fff
	v_add3_u32 v7, v6, v7, s6
                                        ; implicit-def: $vgpr6
; %bb.82:
	s_andn2_saveexec_b64 s[4:5], s[4:5]
; %bb.83:
	v_mov_b32_e32 v7, 0
	v_or_b32_e32 v8, 0x10000, v6
	v_cmp_eq_u32_sdwa vcc, v6, v7 src0_sel:WORD_0 src1_sel:DWORD
	v_cndmask_b32_e32 v7, v8, v6, vcc
; %bb.84:
	s_or_b64 exec, exec, s[4:5]
	v_lshrrev_b32_e32 v6, 16, v7
	s_or_b64 exec, exec, s[2:3]
	v_pk_mov_b32 v[8:9], 0, 0
	s_and_saveexec_b64 s[2:3], s[0:1]
	s_cbranch_execz .LBB21_74
.LBB21_85:
	v_div_scale_f32 v7, s[4:5], v13, v13, v33
	v_rcp_f32_e32 v8, v7
	v_div_scale_f32 v9, vcc, v33, v13, v33
	s_mov_b32 s4, 0x7f800000
	v_fma_f32 v10, -v7, v8, 1.0
	v_fmac_f32_e32 v8, v10, v8
	v_mul_f32_e32 v10, v9, v8
	v_fma_f32 v11, -v7, v10, v9
	v_fmac_f32_e32 v10, v11, v8
	v_fma_f32 v7, -v7, v10, v9
	v_div_fmas_f32 v7, v7, v8, v10
	v_div_fixup_f32 v7, v7, v13, v33
	v_and_b32_e32 v8, 0x7f800000, v7
	v_cmp_ne_u32_e32 vcc, s4, v8
                                        ; implicit-def: $vgpr8
	s_and_saveexec_b64 s[4:5], vcc
	s_xor_b64 s[4:5], exec, s[4:5]
; %bb.86:
	v_bfe_u32 v8, v7, 16, 1
	s_movk_i32 s6, 0x7fff
	v_add3_u32 v8, v7, v8, s6
                                        ; implicit-def: $vgpr7
; %bb.87:
	s_andn2_saveexec_b64 s[4:5], s[4:5]
; %bb.88:
	v_mov_b32_e32 v8, 0
	v_or_b32_e32 v9, 0x10000, v7
	v_cmp_eq_u32_sdwa vcc, v7, v8 src0_sel:WORD_0 src1_sel:DWORD
	v_cndmask_b32_e32 v8, v9, v7, vcc
; %bb.89:
	s_or_b64 exec, exec, s[4:5]
	v_lshrrev_b32_e32 v8, 16, v8
	s_or_b64 exec, exec, s[2:3]
	v_pk_mov_b32 v[10:11], 0, 0
	s_and_saveexec_b64 s[2:3], s[0:1]
	s_cbranch_execz .LBB21_95
.LBB21_90:
	v_div_scale_f32 v7, s[4:5], v13, v13, v32
	v_rcp_f32_e32 v9, v7
	v_div_scale_f32 v10, vcc, v32, v13, v32
	s_mov_b32 s4, 0x7f800000
	v_fma_f32 v11, -v7, v9, 1.0
	v_fmac_f32_e32 v9, v11, v9
	v_mul_f32_e32 v11, v10, v9
	v_fma_f32 v33, -v7, v11, v10
	v_fmac_f32_e32 v11, v33, v9
	v_fma_f32 v7, -v7, v11, v10
	v_div_fmas_f32 v7, v7, v9, v11
	v_div_fixup_f32 v7, v7, v13, v32
	v_and_b32_e32 v9, 0x7f800000, v7
	v_cmp_ne_u32_e32 vcc, s4, v9
                                        ; implicit-def: $vgpr9
	s_and_saveexec_b64 s[4:5], vcc
	s_xor_b64 s[4:5], exec, s[4:5]
; %bb.91:
	v_bfe_u32 v9, v7, 16, 1
	s_movk_i32 s6, 0x7fff
	v_add3_u32 v9, v7, v9, s6
                                        ; implicit-def: $vgpr7
; %bb.92:
	s_andn2_saveexec_b64 s[4:5], s[4:5]
; %bb.93:
	v_mov_b32_e32 v9, 0
	v_or_b32_e32 v10, 0x10000, v7
	v_cmp_eq_u32_sdwa vcc, v7, v9 src0_sel:WORD_0 src1_sel:DWORD
	v_cndmask_b32_e32 v9, v10, v7, vcc
; %bb.94:
	s_or_b64 exec, exec, s[4:5]
	v_lshrrev_b32_e32 v10, 16, v9
.LBB21_95:
	s_or_b64 exec, exec, s[2:3]
	v_lshlrev_b32_e32 v9, 16, v10
	v_mov_b32_e32 v7, v8
	v_or_b32_e32 v7, v9, v7
	v_lshlrev_b32_e32 v6, 16, v6
	v_or_b32_e32 v5, v7, v5
	v_or_b32_e32 v4, v6, v4
	global_store_dwordx2 v[2:3], v[4:5], off offset:512
	v_add_u32_e32 v4, 0x180, v0
	v_cmp_gt_u32_e32 vcc, s14, v4
	s_and_b64 exec, exec, vcc
	s_cbranch_execz .LBB21_221
; %bb.96:
	v_pk_mov_b32 v[4:5], 0, 0
	s_and_saveexec_b64 s[2:3], s[0:1]
	s_cbranch_execnz .LBB21_100
; %bb.97:
	s_or_b64 exec, exec, s[2:3]
	v_pk_mov_b32 v[6:7], 0, 0
	s_and_saveexec_b64 s[2:3], s[0:1]
	s_cbranch_execnz .LBB21_105
.LBB21_98:
	s_or_b64 exec, exec, s[2:3]
	v_pk_mov_b32 v[8:9], 0, 0
	s_and_saveexec_b64 s[2:3], s[0:1]
	s_cbranch_execnz .LBB21_110
.LBB21_99:
	s_or_b64 exec, exec, s[2:3]
	v_pk_mov_b32 v[10:11], 0, 0
	s_and_saveexec_b64 s[2:3], s[0:1]
	s_cbranch_execnz .LBB21_115
	s_branch .LBB21_120
.LBB21_100:
	v_div_scale_f32 v4, s[4:5], v13, v13, v31
	v_rcp_f32_e32 v5, v4
	v_div_scale_f32 v6, vcc, v31, v13, v31
	s_mov_b32 s4, 0x7f800000
	v_fma_f32 v7, -v4, v5, 1.0
	v_fmac_f32_e32 v5, v7, v5
	v_mul_f32_e32 v7, v6, v5
	v_fma_f32 v8, -v4, v7, v6
	v_fmac_f32_e32 v7, v8, v5
	v_fma_f32 v4, -v4, v7, v6
	v_div_fmas_f32 v4, v4, v5, v7
	v_div_fixup_f32 v4, v4, v13, v31
	v_and_b32_e32 v5, 0x7f800000, v4
	v_cmp_ne_u32_e32 vcc, s4, v5
                                        ; implicit-def: $vgpr5
	s_and_saveexec_b64 s[4:5], vcc
	s_xor_b64 s[4:5], exec, s[4:5]
; %bb.101:
	v_bfe_u32 v5, v4, 16, 1
	s_movk_i32 s6, 0x7fff
	v_add3_u32 v5, v4, v5, s6
                                        ; implicit-def: $vgpr4
; %bb.102:
	s_andn2_saveexec_b64 s[4:5], s[4:5]
; %bb.103:
	v_mov_b32_e32 v5, 0
	v_or_b32_e32 v6, 0x10000, v4
	v_cmp_eq_u32_sdwa vcc, v4, v5 src0_sel:WORD_0 src1_sel:DWORD
	v_cndmask_b32_e32 v5, v6, v4, vcc
; %bb.104:
	s_or_b64 exec, exec, s[4:5]
	v_lshrrev_b32_e32 v4, 16, v5
	v_mov_b32_e32 v5, 0
	s_or_b64 exec, exec, s[2:3]
	v_pk_mov_b32 v[6:7], 0, 0
	s_and_saveexec_b64 s[2:3], s[0:1]
	s_cbranch_execz .LBB21_98
.LBB21_105:
	v_div_scale_f32 v6, s[4:5], v13, v13, v30
	v_rcp_f32_e32 v7, v6
	v_div_scale_f32 v8, vcc, v30, v13, v30
	s_mov_b32 s4, 0x7f800000
	v_fma_f32 v9, -v6, v7, 1.0
	v_fmac_f32_e32 v7, v9, v7
	v_mul_f32_e32 v9, v8, v7
	v_fma_f32 v10, -v6, v9, v8
	v_fmac_f32_e32 v9, v10, v7
	v_fma_f32 v6, -v6, v9, v8
	v_div_fmas_f32 v6, v6, v7, v9
	v_div_fixup_f32 v6, v6, v13, v30
	v_and_b32_e32 v7, 0x7f800000, v6
	v_cmp_ne_u32_e32 vcc, s4, v7
                                        ; implicit-def: $vgpr7
	s_and_saveexec_b64 s[4:5], vcc
	s_xor_b64 s[4:5], exec, s[4:5]
; %bb.106:
	v_bfe_u32 v7, v6, 16, 1
	s_movk_i32 s6, 0x7fff
	v_add3_u32 v7, v6, v7, s6
                                        ; implicit-def: $vgpr6
; %bb.107:
	s_andn2_saveexec_b64 s[4:5], s[4:5]
; %bb.108:
	v_mov_b32_e32 v7, 0
	v_or_b32_e32 v8, 0x10000, v6
	v_cmp_eq_u32_sdwa vcc, v6, v7 src0_sel:WORD_0 src1_sel:DWORD
	v_cndmask_b32_e32 v7, v8, v6, vcc
; %bb.109:
	s_or_b64 exec, exec, s[4:5]
	v_lshrrev_b32_e32 v6, 16, v7
	s_or_b64 exec, exec, s[2:3]
	v_pk_mov_b32 v[8:9], 0, 0
	s_and_saveexec_b64 s[2:3], s[0:1]
	s_cbranch_execz .LBB21_99
.LBB21_110:
	v_div_scale_f32 v7, s[4:5], v13, v13, v29
	v_rcp_f32_e32 v8, v7
	v_div_scale_f32 v9, vcc, v29, v13, v29
	s_mov_b32 s4, 0x7f800000
	v_fma_f32 v10, -v7, v8, 1.0
	v_fmac_f32_e32 v8, v10, v8
	v_mul_f32_e32 v10, v9, v8
	v_fma_f32 v11, -v7, v10, v9
	v_fmac_f32_e32 v10, v11, v8
	v_fma_f32 v7, -v7, v10, v9
	v_div_fmas_f32 v7, v7, v8, v10
	v_div_fixup_f32 v7, v7, v13, v29
	v_and_b32_e32 v8, 0x7f800000, v7
	v_cmp_ne_u32_e32 vcc, s4, v8
                                        ; implicit-def: $vgpr8
	s_and_saveexec_b64 s[4:5], vcc
	s_xor_b64 s[4:5], exec, s[4:5]
; %bb.111:
	v_bfe_u32 v8, v7, 16, 1
	s_movk_i32 s6, 0x7fff
	v_add3_u32 v8, v7, v8, s6
                                        ; implicit-def: $vgpr7
; %bb.112:
	s_andn2_saveexec_b64 s[4:5], s[4:5]
; %bb.113:
	v_mov_b32_e32 v8, 0
	v_or_b32_e32 v9, 0x10000, v7
	v_cmp_eq_u32_sdwa vcc, v7, v8 src0_sel:WORD_0 src1_sel:DWORD
	v_cndmask_b32_e32 v8, v9, v7, vcc
; %bb.114:
	s_or_b64 exec, exec, s[4:5]
	v_lshrrev_b32_e32 v8, 16, v8
	s_or_b64 exec, exec, s[2:3]
	v_pk_mov_b32 v[10:11], 0, 0
	s_and_saveexec_b64 s[2:3], s[0:1]
	s_cbranch_execz .LBB21_120
.LBB21_115:
	v_div_scale_f32 v7, s[4:5], v13, v13, v28
	v_rcp_f32_e32 v9, v7
	v_div_scale_f32 v10, vcc, v28, v13, v28
	s_mov_b32 s4, 0x7f800000
	v_fma_f32 v11, -v7, v9, 1.0
	v_fmac_f32_e32 v9, v11, v9
	v_mul_f32_e32 v11, v10, v9
	v_fma_f32 v29, -v7, v11, v10
	v_fmac_f32_e32 v11, v29, v9
	v_fma_f32 v7, -v7, v11, v10
	v_div_fmas_f32 v7, v7, v9, v11
	v_div_fixup_f32 v7, v7, v13, v28
	v_and_b32_e32 v9, 0x7f800000, v7
	v_cmp_ne_u32_e32 vcc, s4, v9
                                        ; implicit-def: $vgpr9
	s_and_saveexec_b64 s[4:5], vcc
	s_xor_b64 s[4:5], exec, s[4:5]
; %bb.116:
	v_bfe_u32 v9, v7, 16, 1
	s_movk_i32 s6, 0x7fff
	v_add3_u32 v9, v7, v9, s6
                                        ; implicit-def: $vgpr7
; %bb.117:
	s_andn2_saveexec_b64 s[4:5], s[4:5]
; %bb.118:
	v_mov_b32_e32 v9, 0
	v_or_b32_e32 v10, 0x10000, v7
	v_cmp_eq_u32_sdwa vcc, v7, v9 src0_sel:WORD_0 src1_sel:DWORD
	v_cndmask_b32_e32 v9, v10, v7, vcc
; %bb.119:
	s_or_b64 exec, exec, s[4:5]
	v_lshrrev_b32_e32 v10, 16, v9
.LBB21_120:
	s_or_b64 exec, exec, s[2:3]
	v_lshlrev_b32_e32 v9, 16, v10
	v_mov_b32_e32 v7, v8
	v_or_b32_e32 v7, v9, v7
	v_lshlrev_b32_e32 v6, 16, v6
	v_or_b32_e32 v5, v7, v5
	v_or_b32_e32 v4, v6, v4
	global_store_dwordx2 v[2:3], v[4:5], off offset:768
	v_add_u32_e32 v4, 0x200, v0
	v_cmp_gt_u32_e32 vcc, s14, v4
	s_and_b64 exec, exec, vcc
	s_cbranch_execz .LBB21_221
; %bb.121:
	v_pk_mov_b32 v[4:5], 0, 0
	s_and_saveexec_b64 s[2:3], s[0:1]
	s_cbranch_execnz .LBB21_125
; %bb.122:
	s_or_b64 exec, exec, s[2:3]
	v_pk_mov_b32 v[6:7], 0, 0
	s_and_saveexec_b64 s[2:3], s[0:1]
	s_cbranch_execnz .LBB21_130
.LBB21_123:
	s_or_b64 exec, exec, s[2:3]
	v_pk_mov_b32 v[8:9], 0, 0
	s_and_saveexec_b64 s[2:3], s[0:1]
	s_cbranch_execnz .LBB21_135
.LBB21_124:
	s_or_b64 exec, exec, s[2:3]
	v_pk_mov_b32 v[10:11], 0, 0
	s_and_saveexec_b64 s[2:3], s[0:1]
	s_cbranch_execnz .LBB21_140
	s_branch .LBB21_145
.LBB21_125:
	v_div_scale_f32 v4, s[4:5], v13, v13, v27
	v_rcp_f32_e32 v5, v4
	v_div_scale_f32 v6, vcc, v27, v13, v27
	s_mov_b32 s4, 0x7f800000
	v_fma_f32 v7, -v4, v5, 1.0
	v_fmac_f32_e32 v5, v7, v5
	v_mul_f32_e32 v7, v6, v5
	v_fma_f32 v8, -v4, v7, v6
	v_fmac_f32_e32 v7, v8, v5
	v_fma_f32 v4, -v4, v7, v6
	v_div_fmas_f32 v4, v4, v5, v7
	v_div_fixup_f32 v4, v4, v13, v27
	v_and_b32_e32 v5, 0x7f800000, v4
	v_cmp_ne_u32_e32 vcc, s4, v5
                                        ; implicit-def: $vgpr5
	s_and_saveexec_b64 s[4:5], vcc
	s_xor_b64 s[4:5], exec, s[4:5]
; %bb.126:
	v_bfe_u32 v5, v4, 16, 1
	s_movk_i32 s6, 0x7fff
	v_add3_u32 v5, v4, v5, s6
                                        ; implicit-def: $vgpr4
; %bb.127:
	s_andn2_saveexec_b64 s[4:5], s[4:5]
; %bb.128:
	v_mov_b32_e32 v5, 0
	v_or_b32_e32 v6, 0x10000, v4
	v_cmp_eq_u32_sdwa vcc, v4, v5 src0_sel:WORD_0 src1_sel:DWORD
	v_cndmask_b32_e32 v5, v6, v4, vcc
; %bb.129:
	s_or_b64 exec, exec, s[4:5]
	v_lshrrev_b32_e32 v4, 16, v5
	v_mov_b32_e32 v5, 0
	s_or_b64 exec, exec, s[2:3]
	v_pk_mov_b32 v[6:7], 0, 0
	s_and_saveexec_b64 s[2:3], s[0:1]
	s_cbranch_execz .LBB21_123
.LBB21_130:
	v_div_scale_f32 v6, s[4:5], v13, v13, v26
	v_rcp_f32_e32 v7, v6
	v_div_scale_f32 v8, vcc, v26, v13, v26
	s_mov_b32 s4, 0x7f800000
	v_fma_f32 v9, -v6, v7, 1.0
	v_fmac_f32_e32 v7, v9, v7
	v_mul_f32_e32 v9, v8, v7
	v_fma_f32 v10, -v6, v9, v8
	v_fmac_f32_e32 v9, v10, v7
	v_fma_f32 v6, -v6, v9, v8
	v_div_fmas_f32 v6, v6, v7, v9
	v_div_fixup_f32 v6, v6, v13, v26
	v_and_b32_e32 v7, 0x7f800000, v6
	v_cmp_ne_u32_e32 vcc, s4, v7
                                        ; implicit-def: $vgpr7
	s_and_saveexec_b64 s[4:5], vcc
	s_xor_b64 s[4:5], exec, s[4:5]
; %bb.131:
	v_bfe_u32 v7, v6, 16, 1
	s_movk_i32 s6, 0x7fff
	v_add3_u32 v7, v6, v7, s6
                                        ; implicit-def: $vgpr6
; %bb.132:
	s_andn2_saveexec_b64 s[4:5], s[4:5]
; %bb.133:
	v_mov_b32_e32 v7, 0
	v_or_b32_e32 v8, 0x10000, v6
	v_cmp_eq_u32_sdwa vcc, v6, v7 src0_sel:WORD_0 src1_sel:DWORD
	v_cndmask_b32_e32 v7, v8, v6, vcc
; %bb.134:
	s_or_b64 exec, exec, s[4:5]
	v_lshrrev_b32_e32 v6, 16, v7
	s_or_b64 exec, exec, s[2:3]
	v_pk_mov_b32 v[8:9], 0, 0
	s_and_saveexec_b64 s[2:3], s[0:1]
	s_cbranch_execz .LBB21_124
.LBB21_135:
	v_div_scale_f32 v7, s[4:5], v13, v13, v25
	v_rcp_f32_e32 v8, v7
	v_div_scale_f32 v9, vcc, v25, v13, v25
	s_mov_b32 s4, 0x7f800000
	v_fma_f32 v10, -v7, v8, 1.0
	v_fmac_f32_e32 v8, v10, v8
	v_mul_f32_e32 v10, v9, v8
	v_fma_f32 v11, -v7, v10, v9
	v_fmac_f32_e32 v10, v11, v8
	v_fma_f32 v7, -v7, v10, v9
	v_div_fmas_f32 v7, v7, v8, v10
	v_div_fixup_f32 v7, v7, v13, v25
	v_and_b32_e32 v8, 0x7f800000, v7
	v_cmp_ne_u32_e32 vcc, s4, v8
                                        ; implicit-def: $vgpr8
	s_and_saveexec_b64 s[4:5], vcc
	s_xor_b64 s[4:5], exec, s[4:5]
; %bb.136:
	v_bfe_u32 v8, v7, 16, 1
	s_movk_i32 s6, 0x7fff
	v_add3_u32 v8, v7, v8, s6
                                        ; implicit-def: $vgpr7
; %bb.137:
	s_andn2_saveexec_b64 s[4:5], s[4:5]
; %bb.138:
	v_mov_b32_e32 v8, 0
	v_or_b32_e32 v9, 0x10000, v7
	v_cmp_eq_u32_sdwa vcc, v7, v8 src0_sel:WORD_0 src1_sel:DWORD
	v_cndmask_b32_e32 v8, v9, v7, vcc
; %bb.139:
	s_or_b64 exec, exec, s[4:5]
	v_lshrrev_b32_e32 v8, 16, v8
	s_or_b64 exec, exec, s[2:3]
	v_pk_mov_b32 v[10:11], 0, 0
	s_and_saveexec_b64 s[2:3], s[0:1]
	s_cbranch_execz .LBB21_145
.LBB21_140:
	v_div_scale_f32 v7, s[4:5], v13, v13, v24
	v_rcp_f32_e32 v9, v7
	v_div_scale_f32 v10, vcc, v24, v13, v24
	s_mov_b32 s4, 0x7f800000
	v_fma_f32 v11, -v7, v9, 1.0
	v_fmac_f32_e32 v9, v11, v9
	v_mul_f32_e32 v11, v10, v9
	v_fma_f32 v25, -v7, v11, v10
	v_fmac_f32_e32 v11, v25, v9
	v_fma_f32 v7, -v7, v11, v10
	v_div_fmas_f32 v7, v7, v9, v11
	v_div_fixup_f32 v7, v7, v13, v24
	v_and_b32_e32 v9, 0x7f800000, v7
	v_cmp_ne_u32_e32 vcc, s4, v9
                                        ; implicit-def: $vgpr9
	s_and_saveexec_b64 s[4:5], vcc
	s_xor_b64 s[4:5], exec, s[4:5]
; %bb.141:
	v_bfe_u32 v9, v7, 16, 1
	s_movk_i32 s6, 0x7fff
	v_add3_u32 v9, v7, v9, s6
                                        ; implicit-def: $vgpr7
; %bb.142:
	s_andn2_saveexec_b64 s[4:5], s[4:5]
; %bb.143:
	v_mov_b32_e32 v9, 0
	v_or_b32_e32 v10, 0x10000, v7
	v_cmp_eq_u32_sdwa vcc, v7, v9 src0_sel:WORD_0 src1_sel:DWORD
	v_cndmask_b32_e32 v9, v10, v7, vcc
; %bb.144:
	s_or_b64 exec, exec, s[4:5]
	v_lshrrev_b32_e32 v10, 16, v9
.LBB21_145:
	s_or_b64 exec, exec, s[2:3]
	v_lshlrev_b32_e32 v9, 16, v10
	v_mov_b32_e32 v7, v8
	v_or_b32_e32 v7, v9, v7
	v_lshlrev_b32_e32 v6, 16, v6
	v_or_b32_e32 v5, v7, v5
	v_or_b32_e32 v4, v6, v4
	global_store_dwordx2 v[2:3], v[4:5], off offset:1024
	v_add_u32_e32 v4, 0x280, v0
	v_cmp_gt_u32_e32 vcc, s14, v4
	s_and_b64 exec, exec, vcc
	s_cbranch_execz .LBB21_221
; %bb.146:
	v_pk_mov_b32 v[4:5], 0, 0
	s_and_saveexec_b64 s[2:3], s[0:1]
	s_cbranch_execnz .LBB21_150
; %bb.147:
	s_or_b64 exec, exec, s[2:3]
	v_pk_mov_b32 v[6:7], 0, 0
	s_and_saveexec_b64 s[2:3], s[0:1]
	s_cbranch_execnz .LBB21_155
.LBB21_148:
	s_or_b64 exec, exec, s[2:3]
	v_pk_mov_b32 v[8:9], 0, 0
	s_and_saveexec_b64 s[2:3], s[0:1]
	s_cbranch_execnz .LBB21_160
.LBB21_149:
	s_or_b64 exec, exec, s[2:3]
	v_pk_mov_b32 v[10:11], 0, 0
	s_and_saveexec_b64 s[2:3], s[0:1]
	s_cbranch_execnz .LBB21_165
	s_branch .LBB21_170
.LBB21_150:
	v_div_scale_f32 v4, s[4:5], v13, v13, v23
	v_rcp_f32_e32 v5, v4
	v_div_scale_f32 v6, vcc, v23, v13, v23
	s_mov_b32 s4, 0x7f800000
	v_fma_f32 v7, -v4, v5, 1.0
	v_fmac_f32_e32 v5, v7, v5
	v_mul_f32_e32 v7, v6, v5
	v_fma_f32 v8, -v4, v7, v6
	v_fmac_f32_e32 v7, v8, v5
	v_fma_f32 v4, -v4, v7, v6
	v_div_fmas_f32 v4, v4, v5, v7
	v_div_fixup_f32 v4, v4, v13, v23
	v_and_b32_e32 v5, 0x7f800000, v4
	v_cmp_ne_u32_e32 vcc, s4, v5
                                        ; implicit-def: $vgpr5
	s_and_saveexec_b64 s[4:5], vcc
	s_xor_b64 s[4:5], exec, s[4:5]
; %bb.151:
	v_bfe_u32 v5, v4, 16, 1
	s_movk_i32 s6, 0x7fff
	v_add3_u32 v5, v4, v5, s6
                                        ; implicit-def: $vgpr4
; %bb.152:
	s_andn2_saveexec_b64 s[4:5], s[4:5]
; %bb.153:
	v_mov_b32_e32 v5, 0
	v_or_b32_e32 v6, 0x10000, v4
	v_cmp_eq_u32_sdwa vcc, v4, v5 src0_sel:WORD_0 src1_sel:DWORD
	v_cndmask_b32_e32 v5, v6, v4, vcc
; %bb.154:
	s_or_b64 exec, exec, s[4:5]
	v_lshrrev_b32_e32 v4, 16, v5
	v_mov_b32_e32 v5, 0
	s_or_b64 exec, exec, s[2:3]
	v_pk_mov_b32 v[6:7], 0, 0
	s_and_saveexec_b64 s[2:3], s[0:1]
	s_cbranch_execz .LBB21_148
.LBB21_155:
	v_div_scale_f32 v6, s[4:5], v13, v13, v22
	v_rcp_f32_e32 v7, v6
	v_div_scale_f32 v8, vcc, v22, v13, v22
	s_mov_b32 s4, 0x7f800000
	v_fma_f32 v9, -v6, v7, 1.0
	v_fmac_f32_e32 v7, v9, v7
	v_mul_f32_e32 v9, v8, v7
	v_fma_f32 v10, -v6, v9, v8
	v_fmac_f32_e32 v9, v10, v7
	v_fma_f32 v6, -v6, v9, v8
	v_div_fmas_f32 v6, v6, v7, v9
	v_div_fixup_f32 v6, v6, v13, v22
	v_and_b32_e32 v7, 0x7f800000, v6
	v_cmp_ne_u32_e32 vcc, s4, v7
                                        ; implicit-def: $vgpr7
	s_and_saveexec_b64 s[4:5], vcc
	s_xor_b64 s[4:5], exec, s[4:5]
; %bb.156:
	v_bfe_u32 v7, v6, 16, 1
	s_movk_i32 s6, 0x7fff
	v_add3_u32 v7, v6, v7, s6
                                        ; implicit-def: $vgpr6
; %bb.157:
	s_andn2_saveexec_b64 s[4:5], s[4:5]
; %bb.158:
	v_mov_b32_e32 v7, 0
	v_or_b32_e32 v8, 0x10000, v6
	v_cmp_eq_u32_sdwa vcc, v6, v7 src0_sel:WORD_0 src1_sel:DWORD
	v_cndmask_b32_e32 v7, v8, v6, vcc
; %bb.159:
	s_or_b64 exec, exec, s[4:5]
	v_lshrrev_b32_e32 v6, 16, v7
	s_or_b64 exec, exec, s[2:3]
	v_pk_mov_b32 v[8:9], 0, 0
	s_and_saveexec_b64 s[2:3], s[0:1]
	s_cbranch_execz .LBB21_149
.LBB21_160:
	v_div_scale_f32 v7, s[4:5], v13, v13, v21
	v_rcp_f32_e32 v8, v7
	v_div_scale_f32 v9, vcc, v21, v13, v21
	s_mov_b32 s4, 0x7f800000
	v_fma_f32 v10, -v7, v8, 1.0
	v_fmac_f32_e32 v8, v10, v8
	v_mul_f32_e32 v10, v9, v8
	v_fma_f32 v11, -v7, v10, v9
	v_fmac_f32_e32 v10, v11, v8
	v_fma_f32 v7, -v7, v10, v9
	v_div_fmas_f32 v7, v7, v8, v10
	v_div_fixup_f32 v7, v7, v13, v21
	v_and_b32_e32 v8, 0x7f800000, v7
	v_cmp_ne_u32_e32 vcc, s4, v8
                                        ; implicit-def: $vgpr8
	s_and_saveexec_b64 s[4:5], vcc
	s_xor_b64 s[4:5], exec, s[4:5]
; %bb.161:
	v_bfe_u32 v8, v7, 16, 1
	s_movk_i32 s6, 0x7fff
	v_add3_u32 v8, v7, v8, s6
                                        ; implicit-def: $vgpr7
; %bb.162:
	s_andn2_saveexec_b64 s[4:5], s[4:5]
; %bb.163:
	v_mov_b32_e32 v8, 0
	v_or_b32_e32 v9, 0x10000, v7
	v_cmp_eq_u32_sdwa vcc, v7, v8 src0_sel:WORD_0 src1_sel:DWORD
	v_cndmask_b32_e32 v8, v9, v7, vcc
; %bb.164:
	s_or_b64 exec, exec, s[4:5]
	v_lshrrev_b32_e32 v8, 16, v8
	s_or_b64 exec, exec, s[2:3]
	v_pk_mov_b32 v[10:11], 0, 0
	s_and_saveexec_b64 s[2:3], s[0:1]
	s_cbranch_execz .LBB21_170
.LBB21_165:
	v_div_scale_f32 v7, s[4:5], v13, v13, v20
	v_rcp_f32_e32 v9, v7
	v_div_scale_f32 v10, vcc, v20, v13, v20
	s_mov_b32 s4, 0x7f800000
	v_fma_f32 v11, -v7, v9, 1.0
	v_fmac_f32_e32 v9, v11, v9
	v_mul_f32_e32 v11, v10, v9
	v_fma_f32 v21, -v7, v11, v10
	v_fmac_f32_e32 v11, v21, v9
	v_fma_f32 v7, -v7, v11, v10
	v_div_fmas_f32 v7, v7, v9, v11
	v_div_fixup_f32 v7, v7, v13, v20
	v_and_b32_e32 v9, 0x7f800000, v7
	v_cmp_ne_u32_e32 vcc, s4, v9
                                        ; implicit-def: $vgpr9
	s_and_saveexec_b64 s[4:5], vcc
	s_xor_b64 s[4:5], exec, s[4:5]
; %bb.166:
	v_bfe_u32 v9, v7, 16, 1
	s_movk_i32 s6, 0x7fff
	v_add3_u32 v9, v7, v9, s6
                                        ; implicit-def: $vgpr7
; %bb.167:
	s_andn2_saveexec_b64 s[4:5], s[4:5]
; %bb.168:
	v_mov_b32_e32 v9, 0
	v_or_b32_e32 v10, 0x10000, v7
	v_cmp_eq_u32_sdwa vcc, v7, v9 src0_sel:WORD_0 src1_sel:DWORD
	v_cndmask_b32_e32 v9, v10, v7, vcc
; %bb.169:
	s_or_b64 exec, exec, s[4:5]
	v_lshrrev_b32_e32 v10, 16, v9
.LBB21_170:
	s_or_b64 exec, exec, s[2:3]
	v_lshlrev_b32_e32 v9, 16, v10
	v_mov_b32_e32 v7, v8
	v_or_b32_e32 v7, v9, v7
	v_lshlrev_b32_e32 v6, 16, v6
	v_or_b32_e32 v5, v7, v5
	v_or_b32_e32 v4, v6, v4
	global_store_dwordx2 v[2:3], v[4:5], off offset:1280
	v_add_u32_e32 v4, 0x300, v0
	v_cmp_gt_u32_e32 vcc, s14, v4
	s_and_b64 exec, exec, vcc
	s_cbranch_execz .LBB21_221
; %bb.171:
	v_pk_mov_b32 v[4:5], 0, 0
	s_and_saveexec_b64 s[2:3], s[0:1]
	s_cbranch_execnz .LBB21_175
; %bb.172:
	s_or_b64 exec, exec, s[2:3]
	v_pk_mov_b32 v[6:7], 0, 0
	s_and_saveexec_b64 s[2:3], s[0:1]
	s_cbranch_execnz .LBB21_180
.LBB21_173:
	s_or_b64 exec, exec, s[2:3]
	v_pk_mov_b32 v[8:9], 0, 0
	s_and_saveexec_b64 s[2:3], s[0:1]
	s_cbranch_execnz .LBB21_185
.LBB21_174:
	s_or_b64 exec, exec, s[2:3]
	v_pk_mov_b32 v[10:11], 0, 0
	s_and_saveexec_b64 s[2:3], s[0:1]
	s_cbranch_execnz .LBB21_190
	s_branch .LBB21_195
.LBB21_175:
	v_div_scale_f32 v4, s[4:5], v13, v13, v19
	v_rcp_f32_e32 v5, v4
	v_div_scale_f32 v6, vcc, v19, v13, v19
	s_mov_b32 s4, 0x7f800000
	v_fma_f32 v7, -v4, v5, 1.0
	v_fmac_f32_e32 v5, v7, v5
	v_mul_f32_e32 v7, v6, v5
	v_fma_f32 v8, -v4, v7, v6
	v_fmac_f32_e32 v7, v8, v5
	v_fma_f32 v4, -v4, v7, v6
	v_div_fmas_f32 v4, v4, v5, v7
	v_div_fixup_f32 v4, v4, v13, v19
	v_and_b32_e32 v5, 0x7f800000, v4
	v_cmp_ne_u32_e32 vcc, s4, v5
                                        ; implicit-def: $vgpr5
	s_and_saveexec_b64 s[4:5], vcc
	s_xor_b64 s[4:5], exec, s[4:5]
; %bb.176:
	v_bfe_u32 v5, v4, 16, 1
	s_movk_i32 s6, 0x7fff
	v_add3_u32 v5, v4, v5, s6
                                        ; implicit-def: $vgpr4
; %bb.177:
	s_andn2_saveexec_b64 s[4:5], s[4:5]
; %bb.178:
	v_mov_b32_e32 v5, 0
	v_or_b32_e32 v6, 0x10000, v4
	v_cmp_eq_u32_sdwa vcc, v4, v5 src0_sel:WORD_0 src1_sel:DWORD
	v_cndmask_b32_e32 v5, v6, v4, vcc
; %bb.179:
	s_or_b64 exec, exec, s[4:5]
	v_lshrrev_b32_e32 v4, 16, v5
	v_mov_b32_e32 v5, 0
	s_or_b64 exec, exec, s[2:3]
	v_pk_mov_b32 v[6:7], 0, 0
	s_and_saveexec_b64 s[2:3], s[0:1]
	s_cbranch_execz .LBB21_173
.LBB21_180:
	v_div_scale_f32 v6, s[4:5], v13, v13, v18
	v_rcp_f32_e32 v7, v6
	v_div_scale_f32 v8, vcc, v18, v13, v18
	s_mov_b32 s4, 0x7f800000
	v_fma_f32 v9, -v6, v7, 1.0
	v_fmac_f32_e32 v7, v9, v7
	v_mul_f32_e32 v9, v8, v7
	v_fma_f32 v10, -v6, v9, v8
	v_fmac_f32_e32 v9, v10, v7
	v_fma_f32 v6, -v6, v9, v8
	v_div_fmas_f32 v6, v6, v7, v9
	v_div_fixup_f32 v6, v6, v13, v18
	v_and_b32_e32 v7, 0x7f800000, v6
	v_cmp_ne_u32_e32 vcc, s4, v7
                                        ; implicit-def: $vgpr7
	s_and_saveexec_b64 s[4:5], vcc
	s_xor_b64 s[4:5], exec, s[4:5]
; %bb.181:
	v_bfe_u32 v7, v6, 16, 1
	s_movk_i32 s6, 0x7fff
	v_add3_u32 v7, v6, v7, s6
                                        ; implicit-def: $vgpr6
; %bb.182:
	s_andn2_saveexec_b64 s[4:5], s[4:5]
; %bb.183:
	v_mov_b32_e32 v7, 0
	v_or_b32_e32 v8, 0x10000, v6
	v_cmp_eq_u32_sdwa vcc, v6, v7 src0_sel:WORD_0 src1_sel:DWORD
	v_cndmask_b32_e32 v7, v8, v6, vcc
; %bb.184:
	s_or_b64 exec, exec, s[4:5]
	v_lshrrev_b32_e32 v6, 16, v7
	s_or_b64 exec, exec, s[2:3]
	v_pk_mov_b32 v[8:9], 0, 0
	s_and_saveexec_b64 s[2:3], s[0:1]
	s_cbranch_execz .LBB21_174
.LBB21_185:
	v_div_scale_f32 v7, s[4:5], v13, v13, v17
	v_rcp_f32_e32 v8, v7
	v_div_scale_f32 v9, vcc, v17, v13, v17
	s_mov_b32 s4, 0x7f800000
	v_fma_f32 v10, -v7, v8, 1.0
	v_fmac_f32_e32 v8, v10, v8
	v_mul_f32_e32 v10, v9, v8
	v_fma_f32 v11, -v7, v10, v9
	v_fmac_f32_e32 v10, v11, v8
	v_fma_f32 v7, -v7, v10, v9
	v_div_fmas_f32 v7, v7, v8, v10
	v_div_fixup_f32 v7, v7, v13, v17
	v_and_b32_e32 v8, 0x7f800000, v7
	v_cmp_ne_u32_e32 vcc, s4, v8
                                        ; implicit-def: $vgpr8
	s_and_saveexec_b64 s[4:5], vcc
	s_xor_b64 s[4:5], exec, s[4:5]
; %bb.186:
	v_bfe_u32 v8, v7, 16, 1
	s_movk_i32 s6, 0x7fff
	v_add3_u32 v8, v7, v8, s6
                                        ; implicit-def: $vgpr7
; %bb.187:
	s_andn2_saveexec_b64 s[4:5], s[4:5]
; %bb.188:
	v_mov_b32_e32 v8, 0
	v_or_b32_e32 v9, 0x10000, v7
	v_cmp_eq_u32_sdwa vcc, v7, v8 src0_sel:WORD_0 src1_sel:DWORD
	v_cndmask_b32_e32 v8, v9, v7, vcc
; %bb.189:
	s_or_b64 exec, exec, s[4:5]
	v_lshrrev_b32_e32 v9, 16, v8
	v_mov_b32_e32 v8, 0
	s_or_b64 exec, exec, s[2:3]
	v_pk_mov_b32 v[10:11], 0, 0
	s_and_saveexec_b64 s[2:3], s[0:1]
	s_cbranch_execz .LBB21_195
.LBB21_190:
	v_div_scale_f32 v7, s[4:5], v13, v13, v1
	v_rcp_f32_e32 v10, v7
	v_div_scale_f32 v11, vcc, v1, v13, v1
	s_mov_b32 s4, 0x7f800000
	v_fma_f32 v17, -v7, v10, 1.0
	v_fmac_f32_e32 v10, v17, v10
	v_mul_f32_e32 v17, v11, v10
	v_fma_f32 v18, -v7, v17, v11
	v_fmac_f32_e32 v17, v18, v10
	v_fma_f32 v7, -v7, v17, v11
	v_div_fmas_f32 v7, v7, v10, v17
	v_div_fixup_f32 v1, v7, v13, v1
	v_and_b32_e32 v7, 0x7f800000, v1
	v_cmp_ne_u32_e32 vcc, s4, v7
                                        ; implicit-def: $vgpr7
	s_and_saveexec_b64 s[4:5], vcc
	s_xor_b64 s[4:5], exec, s[4:5]
; %bb.191:
	v_bfe_u32 v7, v1, 16, 1
	s_movk_i32 s6, 0x7fff
	v_add3_u32 v7, v1, v7, s6
                                        ; implicit-def: $vgpr1
; %bb.192:
	s_andn2_saveexec_b64 s[4:5], s[4:5]
; %bb.193:
	v_mov_b32_e32 v7, 0
	v_or_b32_e32 v10, 0x10000, v1
	v_cmp_eq_u32_sdwa vcc, v1, v7 src0_sel:WORD_0 src1_sel:DWORD
	v_cndmask_b32_e32 v7, v10, v1, vcc
; %bb.194:
	s_or_b64 exec, exec, s[4:5]
	v_and_b32_e32 v11, 0xffff0000, v7
	v_mov_b32_e32 v10, 0
.LBB21_195:
	s_or_b64 exec, exec, s[2:3]
	v_or_b32_e32 v7, v10, v8
	v_or_b32_e32 v1, v11, v9
	v_lshl_or_b32 v6, v6, 16, v7
	v_add_u32_e32 v0, 0x380, v0
	v_or_b32_e32 v5, v1, v5
	v_or_b32_e32 v4, v6, v4
	v_cmp_gt_u32_e32 vcc, s14, v0
	global_store_dwordx2 v[2:3], v[4:5], off offset:1536
	s_and_b64 exec, exec, vcc
	s_cbranch_execz .LBB21_221
; %bb.196:
	v_pk_mov_b32 v[0:1], 0, 0
	s_and_saveexec_b64 s[2:3], s[0:1]
	s_cbranch_execnz .LBB21_200
; %bb.197:
	s_or_b64 exec, exec, s[2:3]
	v_pk_mov_b32 v[4:5], 0, 0
	s_and_saveexec_b64 s[2:3], s[0:1]
	s_cbranch_execnz .LBB21_205
.LBB21_198:
	s_or_b64 exec, exec, s[2:3]
	v_pk_mov_b32 v[6:7], 0, 0
	s_and_saveexec_b64 s[2:3], s[0:1]
	s_cbranch_execnz .LBB21_210
.LBB21_199:
	s_or_b64 exec, exec, s[2:3]
	v_pk_mov_b32 v[8:9], 0, 0
	s_and_saveexec_b64 s[2:3], s[0:1]
	s_cbranch_execnz .LBB21_215
	s_branch .LBB21_220
.LBB21_200:
	v_div_scale_f32 v0, s[4:5], v13, v13, v16
	v_rcp_f32_e32 v1, v0
	v_div_scale_f32 v4, vcc, v16, v13, v16
	s_mov_b32 s4, 0x7f800000
	v_fma_f32 v5, -v0, v1, 1.0
	v_fmac_f32_e32 v1, v5, v1
	v_mul_f32_e32 v5, v4, v1
	v_fma_f32 v6, -v0, v5, v4
	v_fmac_f32_e32 v5, v6, v1
	v_fma_f32 v0, -v0, v5, v4
	v_div_fmas_f32 v0, v0, v1, v5
	v_div_fixup_f32 v0, v0, v13, v16
	v_and_b32_e32 v1, 0x7f800000, v0
	v_cmp_ne_u32_e32 vcc, s4, v1
                                        ; implicit-def: $vgpr1
	s_and_saveexec_b64 s[4:5], vcc
	s_xor_b64 s[4:5], exec, s[4:5]
; %bb.201:
	v_bfe_u32 v1, v0, 16, 1
	s_movk_i32 s6, 0x7fff
	v_add3_u32 v1, v0, v1, s6
                                        ; implicit-def: $vgpr0
; %bb.202:
	s_andn2_saveexec_b64 s[4:5], s[4:5]
; %bb.203:
	v_mov_b32_e32 v1, 0
	v_or_b32_e32 v4, 0x10000, v0
	v_cmp_eq_u32_sdwa vcc, v0, v1 src0_sel:WORD_0 src1_sel:DWORD
	v_cndmask_b32_e32 v1, v4, v0, vcc
; %bb.204:
	s_or_b64 exec, exec, s[4:5]
	v_lshrrev_b32_e32 v0, 16, v1
	v_mov_b32_e32 v1, 0
	s_or_b64 exec, exec, s[2:3]
	v_pk_mov_b32 v[4:5], 0, 0
	s_and_saveexec_b64 s[2:3], s[0:1]
	s_cbranch_execz .LBB21_198
.LBB21_205:
	v_div_scale_f32 v4, s[4:5], v13, v13, v15
	v_rcp_f32_e32 v5, v4
	v_div_scale_f32 v6, vcc, v15, v13, v15
	s_mov_b32 s4, 0x7f800000
	v_fma_f32 v7, -v4, v5, 1.0
	v_fmac_f32_e32 v5, v7, v5
	v_mul_f32_e32 v7, v6, v5
	v_fma_f32 v8, -v4, v7, v6
	v_fmac_f32_e32 v7, v8, v5
	v_fma_f32 v4, -v4, v7, v6
	v_div_fmas_f32 v4, v4, v5, v7
	v_div_fixup_f32 v4, v4, v13, v15
	v_and_b32_e32 v5, 0x7f800000, v4
	v_cmp_ne_u32_e32 vcc, s4, v5
                                        ; implicit-def: $vgpr5
	s_and_saveexec_b64 s[4:5], vcc
	s_xor_b64 s[4:5], exec, s[4:5]
; %bb.206:
	v_bfe_u32 v5, v4, 16, 1
	s_movk_i32 s6, 0x7fff
	v_add3_u32 v5, v4, v5, s6
                                        ; implicit-def: $vgpr4
; %bb.207:
	s_andn2_saveexec_b64 s[4:5], s[4:5]
; %bb.208:
	v_mov_b32_e32 v5, 0
	v_or_b32_e32 v6, 0x10000, v4
	v_cmp_eq_u32_sdwa vcc, v4, v5 src0_sel:WORD_0 src1_sel:DWORD
	v_cndmask_b32_e32 v5, v6, v4, vcc
; %bb.209:
	s_or_b64 exec, exec, s[4:5]
	v_and_b32_e32 v4, 0xffff0000, v5
	v_mov_b32_e32 v5, 0
	s_or_b64 exec, exec, s[2:3]
	v_pk_mov_b32 v[6:7], 0, 0
	s_and_saveexec_b64 s[2:3], s[0:1]
	s_cbranch_execz .LBB21_199
.LBB21_210:
	v_div_scale_f32 v6, s[4:5], v13, v13, v14
	v_rcp_f32_e32 v7, v6
	v_div_scale_f32 v8, vcc, v14, v13, v14
	s_mov_b32 s4, 0x7f800000
	v_fma_f32 v9, -v6, v7, 1.0
	v_fmac_f32_e32 v7, v9, v7
	v_mul_f32_e32 v9, v8, v7
	v_fma_f32 v10, -v6, v9, v8
	v_fmac_f32_e32 v9, v10, v7
	v_fma_f32 v6, -v6, v9, v8
	v_div_fmas_f32 v6, v6, v7, v9
	v_div_fixup_f32 v6, v6, v13, v14
	v_and_b32_e32 v7, 0x7f800000, v6
	v_cmp_ne_u32_e32 vcc, s4, v7
                                        ; implicit-def: $vgpr7
	s_and_saveexec_b64 s[4:5], vcc
	s_xor_b64 s[4:5], exec, s[4:5]
; %bb.211:
	v_bfe_u32 v7, v6, 16, 1
	s_movk_i32 s6, 0x7fff
	v_add3_u32 v7, v6, v7, s6
                                        ; implicit-def: $vgpr6
; %bb.212:
	s_andn2_saveexec_b64 s[4:5], s[4:5]
; %bb.213:
	v_mov_b32_e32 v7, 0
	v_or_b32_e32 v8, 0x10000, v6
	v_cmp_eq_u32_sdwa vcc, v6, v7 src0_sel:WORD_0 src1_sel:DWORD
	v_cndmask_b32_e32 v7, v8, v6, vcc
; %bb.214:
	s_or_b64 exec, exec, s[4:5]
	v_lshrrev_b32_e32 v7, 16, v7
	v_mov_b32_e32 v6, 0
	s_or_b64 exec, exec, s[2:3]
	v_pk_mov_b32 v[8:9], 0, 0
	s_and_saveexec_b64 s[2:3], s[0:1]
	s_cbranch_execz .LBB21_220
.LBB21_215:
	v_div_scale_f32 v8, s[0:1], v13, v13, v12
	v_rcp_f32_e32 v9, v8
	v_div_scale_f32 v10, vcc, v12, v13, v12
	s_mov_b32 s0, 0x7f800000
	v_fma_f32 v11, -v8, v9, 1.0
	v_fmac_f32_e32 v9, v11, v9
	v_mul_f32_e32 v11, v10, v9
	v_fma_f32 v14, -v8, v11, v10
	v_fmac_f32_e32 v11, v14, v9
	v_fma_f32 v8, -v8, v11, v10
	v_div_fmas_f32 v8, v8, v9, v11
	v_div_fixup_f32 v8, v8, v13, v12
	v_and_b32_e32 v9, 0x7f800000, v8
	v_cmp_ne_u32_e32 vcc, s0, v9
                                        ; implicit-def: $vgpr9
	s_and_saveexec_b64 s[0:1], vcc
	s_xor_b64 s[0:1], exec, s[0:1]
; %bb.216:
	v_bfe_u32 v9, v8, 16, 1
	s_movk_i32 s4, 0x7fff
	v_add3_u32 v9, v8, v9, s4
                                        ; implicit-def: $vgpr8
; %bb.217:
	s_andn2_saveexec_b64 s[0:1], s[0:1]
; %bb.218:
	v_mov_b32_e32 v9, 0
	v_or_b32_e32 v10, 0x10000, v8
	v_cmp_eq_u32_sdwa vcc, v8, v9 src0_sel:WORD_0 src1_sel:DWORD
	v_cndmask_b32_e32 v9, v10, v8, vcc
; %bb.219:
	s_or_b64 exec, exec, s[0:1]
	v_and_b32_e32 v9, 0xffff0000, v9
	v_mov_b32_e32 v8, 0
.LBB21_220:
	s_or_b64 exec, exec, s[2:3]
	v_or_b32_e32 v7, v9, v7
	v_or_b32_e32 v6, v8, v6
	v_or3_b32 v1, v7, v5, v1
	v_or3_b32 v0, v6, v4, v0
	global_store_dwordx2 v[2:3], v[0:1], off offset:1792
.LBB21_221:
	s_endpgm
	.section	.rodata,"a",@progbits
	.p2align	6, 0x0
	.amdhsa_kernel _Z34scaled_masked_softmax_warp_forwardI14__hip_bfloat16S0_fLi10EEvPT0_PKT_PKhT1_iii
		.amdhsa_group_segment_fixed_size 0
		.amdhsa_private_segment_fixed_size 0
		.amdhsa_kernarg_size 296
		.amdhsa_user_sgpr_count 6
		.amdhsa_user_sgpr_private_segment_buffer 1
		.amdhsa_user_sgpr_dispatch_ptr 0
		.amdhsa_user_sgpr_queue_ptr 0
		.amdhsa_user_sgpr_kernarg_segment_ptr 1
		.amdhsa_user_sgpr_dispatch_id 0
		.amdhsa_user_sgpr_flat_scratch_init 0
		.amdhsa_user_sgpr_kernarg_preload_length 0
		.amdhsa_user_sgpr_kernarg_preload_offset 0
		.amdhsa_user_sgpr_private_segment_size 0
		.amdhsa_uses_dynamic_stack 0
		.amdhsa_system_sgpr_private_segment_wavefront_offset 0
		.amdhsa_system_sgpr_workgroup_id_x 1
		.amdhsa_system_sgpr_workgroup_id_y 1
		.amdhsa_system_sgpr_workgroup_id_z 1
		.amdhsa_system_sgpr_workgroup_info 0
		.amdhsa_system_vgpr_workitem_id 1
		.amdhsa_next_free_vgpr 48
		.amdhsa_next_free_sgpr 20
		.amdhsa_accum_offset 48
		.amdhsa_reserve_vcc 1
		.amdhsa_reserve_flat_scratch 0
		.amdhsa_float_round_mode_32 0
		.amdhsa_float_round_mode_16_64 0
		.amdhsa_float_denorm_mode_32 3
		.amdhsa_float_denorm_mode_16_64 3
		.amdhsa_dx10_clamp 1
		.amdhsa_ieee_mode 1
		.amdhsa_fp16_overflow 0
		.amdhsa_tg_split 0
		.amdhsa_exception_fp_ieee_invalid_op 0
		.amdhsa_exception_fp_denorm_src 0
		.amdhsa_exception_fp_ieee_div_zero 0
		.amdhsa_exception_fp_ieee_overflow 0
		.amdhsa_exception_fp_ieee_underflow 0
		.amdhsa_exception_fp_ieee_inexact 0
		.amdhsa_exception_int_div_zero 0
	.end_amdhsa_kernel
	.section	.text._Z34scaled_masked_softmax_warp_forwardI14__hip_bfloat16S0_fLi10EEvPT0_PKT_PKhT1_iii,"axG",@progbits,_Z34scaled_masked_softmax_warp_forwardI14__hip_bfloat16S0_fLi10EEvPT0_PKT_PKhT1_iii,comdat
.Lfunc_end21:
	.size	_Z34scaled_masked_softmax_warp_forwardI14__hip_bfloat16S0_fLi10EEvPT0_PKT_PKhT1_iii, .Lfunc_end21-_Z34scaled_masked_softmax_warp_forwardI14__hip_bfloat16S0_fLi10EEvPT0_PKT_PKhT1_iii
                                        ; -- End function
	.section	.AMDGPU.csdata,"",@progbits
; Kernel info:
; codeLenInByte = 12532
; NumSgprs: 24
; NumVgprs: 48
; NumAgprs: 0
; TotalNumVgprs: 48
; ScratchSize: 0
; MemoryBound: 0
; FloatMode: 240
; IeeeMode: 1
; LDSByteSize: 0 bytes/workgroup (compile time only)
; SGPRBlocks: 2
; VGPRBlocks: 5
; NumSGPRsForWavesPerEU: 24
; NumVGPRsForWavesPerEU: 48
; AccumOffset: 48
; Occupancy: 8
; WaveLimiterHint : 0
; COMPUTE_PGM_RSRC2:SCRATCH_EN: 0
; COMPUTE_PGM_RSRC2:USER_SGPR: 6
; COMPUTE_PGM_RSRC2:TRAP_HANDLER: 0
; COMPUTE_PGM_RSRC2:TGID_X_EN: 1
; COMPUTE_PGM_RSRC2:TGID_Y_EN: 1
; COMPUTE_PGM_RSRC2:TGID_Z_EN: 1
; COMPUTE_PGM_RSRC2:TIDIG_COMP_CNT: 1
; COMPUTE_PGM_RSRC3_GFX90A:ACCUM_OFFSET: 11
; COMPUTE_PGM_RSRC3_GFX90A:TG_SPLIT: 0
	.text
	.p2alignl 6, 3212836864
	.fill 256, 4, 3212836864
	.type	__hip_cuid_18468a430836c61c,@object ; @__hip_cuid_18468a430836c61c
	.section	.bss,"aw",@nobits
	.globl	__hip_cuid_18468a430836c61c
__hip_cuid_18468a430836c61c:
	.byte	0                               ; 0x0
	.size	__hip_cuid_18468a430836c61c, 1

	.ident	"AMD clang version 19.0.0git (https://github.com/RadeonOpenCompute/llvm-project roc-6.4.0 25133 c7fe45cf4b819c5991fe208aaa96edf142730f1d)"
	.section	".note.GNU-stack","",@progbits
	.addrsig
	.addrsig_sym __hip_cuid_18468a430836c61c
	.amdgpu_metadata
---
amdhsa.kernels:
  - .agpr_count:     0
    .args:
      - .address_space:  global
        .offset:         0
        .size:           8
        .value_kind:     global_buffer
      - .address_space:  global
        .offset:         8
        .size:           8
        .value_kind:     global_buffer
      - .address_space:  global
        .offset:         16
        .size:           8
        .value_kind:     global_buffer
      - .offset:         24
        .size:           4
        .value_kind:     by_value
      - .offset:         28
        .size:           4
        .value_kind:     by_value
      - .offset:         32
        .size:           4
        .value_kind:     by_value
      - .offset:         36
        .size:           4
        .value_kind:     by_value
      - .offset:         40
        .size:           4
        .value_kind:     hidden_block_count_x
      - .offset:         44
        .size:           4
        .value_kind:     hidden_block_count_y
      - .offset:         48
        .size:           4
        .value_kind:     hidden_block_count_z
      - .offset:         52
        .size:           2
        .value_kind:     hidden_group_size_x
      - .offset:         54
        .size:           2
        .value_kind:     hidden_group_size_y
      - .offset:         56
        .size:           2
        .value_kind:     hidden_group_size_z
      - .offset:         58
        .size:           2
        .value_kind:     hidden_remainder_x
      - .offset:         60
        .size:           2
        .value_kind:     hidden_remainder_y
      - .offset:         62
        .size:           2
        .value_kind:     hidden_remainder_z
      - .offset:         80
        .size:           8
        .value_kind:     hidden_global_offset_x
      - .offset:         88
        .size:           8
        .value_kind:     hidden_global_offset_y
      - .offset:         96
        .size:           8
        .value_kind:     hidden_global_offset_z
      - .offset:         104
        .size:           2
        .value_kind:     hidden_grid_dims
    .group_segment_fixed_size: 8192
    .kernarg_segment_align: 8
    .kernarg_segment_size: 296
    .language:       OpenCL C
    .language_version:
      - 2
      - 0
    .max_flat_workgroup_size: 1024
    .name:           _Z34scaled_masked_softmax_warp_forwardI6__halfS0_fLi0EEvPT0_PKT_PKhT1_iii
    .private_segment_fixed_size: 0
    .sgpr_count:     28
    .sgpr_spill_count: 0
    .symbol:         _Z34scaled_masked_softmax_warp_forwardI6__halfS0_fLi0EEvPT0_PKT_PKhT1_iii.kd
    .uniform_work_group_size: 1
    .uses_dynamic_stack: false
    .vgpr_count:     16
    .vgpr_spill_count: 0
    .wavefront_size: 64
  - .agpr_count:     0
    .args:
      - .address_space:  global
        .offset:         0
        .size:           8
        .value_kind:     global_buffer
      - .address_space:  global
        .offset:         8
        .size:           8
        .value_kind:     global_buffer
      - .address_space:  global
        .offset:         16
        .size:           8
        .value_kind:     global_buffer
      - .offset:         24
        .size:           4
        .value_kind:     by_value
      - .offset:         28
        .size:           4
        .value_kind:     by_value
      - .offset:         32
        .size:           4
        .value_kind:     by_value
      - .offset:         36
        .size:           4
        .value_kind:     by_value
      - .offset:         40
        .size:           4
        .value_kind:     hidden_block_count_x
      - .offset:         44
        .size:           4
        .value_kind:     hidden_block_count_y
      - .offset:         48
        .size:           4
        .value_kind:     hidden_block_count_z
      - .offset:         52
        .size:           2
        .value_kind:     hidden_group_size_x
      - .offset:         54
        .size:           2
        .value_kind:     hidden_group_size_y
      - .offset:         56
        .size:           2
        .value_kind:     hidden_group_size_z
      - .offset:         58
        .size:           2
        .value_kind:     hidden_remainder_x
      - .offset:         60
        .size:           2
        .value_kind:     hidden_remainder_y
      - .offset:         62
        .size:           2
        .value_kind:     hidden_remainder_z
      - .offset:         80
        .size:           8
        .value_kind:     hidden_global_offset_x
      - .offset:         88
        .size:           8
        .value_kind:     hidden_global_offset_y
      - .offset:         96
        .size:           8
        .value_kind:     hidden_global_offset_z
      - .offset:         104
        .size:           2
        .value_kind:     hidden_grid_dims
    .group_segment_fixed_size: 8192
    .kernarg_segment_align: 8
    .kernarg_segment_size: 296
    .language:       OpenCL C
    .language_version:
      - 2
      - 0
    .max_flat_workgroup_size: 1024
    .name:           _Z34scaled_masked_softmax_warp_forwardI6__halfS0_fLi1EEvPT0_PKT_PKhT1_iii
    .private_segment_fixed_size: 0
    .sgpr_count:     28
    .sgpr_spill_count: 0
    .symbol:         _Z34scaled_masked_softmax_warp_forwardI6__halfS0_fLi1EEvPT0_PKT_PKhT1_iii.kd
    .uniform_work_group_size: 1
    .uses_dynamic_stack: false
    .vgpr_count:     16
    .vgpr_spill_count: 0
    .wavefront_size: 64
  - .agpr_count:     0
    .args:
      - .address_space:  global
        .offset:         0
        .size:           8
        .value_kind:     global_buffer
      - .address_space:  global
        .offset:         8
        .size:           8
        .value_kind:     global_buffer
      - .address_space:  global
        .offset:         16
        .size:           8
        .value_kind:     global_buffer
      - .offset:         24
        .size:           4
        .value_kind:     by_value
      - .offset:         28
        .size:           4
        .value_kind:     by_value
      - .offset:         32
        .size:           4
        .value_kind:     by_value
      - .offset:         36
        .size:           4
        .value_kind:     by_value
      - .offset:         40
        .size:           4
        .value_kind:     hidden_block_count_x
      - .offset:         44
        .size:           4
        .value_kind:     hidden_block_count_y
      - .offset:         48
        .size:           4
        .value_kind:     hidden_block_count_z
      - .offset:         52
        .size:           2
        .value_kind:     hidden_group_size_x
      - .offset:         54
        .size:           2
        .value_kind:     hidden_group_size_y
      - .offset:         56
        .size:           2
        .value_kind:     hidden_group_size_z
      - .offset:         58
        .size:           2
        .value_kind:     hidden_remainder_x
      - .offset:         60
        .size:           2
        .value_kind:     hidden_remainder_y
      - .offset:         62
        .size:           2
        .value_kind:     hidden_remainder_z
      - .offset:         80
        .size:           8
        .value_kind:     hidden_global_offset_x
      - .offset:         88
        .size:           8
        .value_kind:     hidden_global_offset_y
      - .offset:         96
        .size:           8
        .value_kind:     hidden_global_offset_z
      - .offset:         104
        .size:           2
        .value_kind:     hidden_grid_dims
    .group_segment_fixed_size: 8192
    .kernarg_segment_align: 8
    .kernarg_segment_size: 296
    .language:       OpenCL C
    .language_version:
      - 2
      - 0
    .max_flat_workgroup_size: 1024
    .name:           _Z34scaled_masked_softmax_warp_forwardI6__halfS0_fLi2EEvPT0_PKT_PKhT1_iii
    .private_segment_fixed_size: 0
    .sgpr_count:     28
    .sgpr_spill_count: 0
    .symbol:         _Z34scaled_masked_softmax_warp_forwardI6__halfS0_fLi2EEvPT0_PKT_PKhT1_iii.kd
    .uniform_work_group_size: 1
    .uses_dynamic_stack: false
    .vgpr_count:     16
    .vgpr_spill_count: 0
    .wavefront_size: 64
  - .agpr_count:     0
    .args:
      - .address_space:  global
        .offset:         0
        .size:           8
        .value_kind:     global_buffer
      - .address_space:  global
        .offset:         8
        .size:           8
        .value_kind:     global_buffer
      - .address_space:  global
        .offset:         16
        .size:           8
        .value_kind:     global_buffer
      - .offset:         24
        .size:           4
        .value_kind:     by_value
      - .offset:         28
        .size:           4
        .value_kind:     by_value
      - .offset:         32
        .size:           4
        .value_kind:     by_value
      - .offset:         36
        .size:           4
        .value_kind:     by_value
      - .offset:         40
        .size:           4
        .value_kind:     hidden_block_count_x
      - .offset:         44
        .size:           4
        .value_kind:     hidden_block_count_y
      - .offset:         48
        .size:           4
        .value_kind:     hidden_block_count_z
      - .offset:         52
        .size:           2
        .value_kind:     hidden_group_size_x
      - .offset:         54
        .size:           2
        .value_kind:     hidden_group_size_y
      - .offset:         56
        .size:           2
        .value_kind:     hidden_group_size_z
      - .offset:         58
        .size:           2
        .value_kind:     hidden_remainder_x
      - .offset:         60
        .size:           2
        .value_kind:     hidden_remainder_y
      - .offset:         62
        .size:           2
        .value_kind:     hidden_remainder_z
      - .offset:         80
        .size:           8
        .value_kind:     hidden_global_offset_x
      - .offset:         88
        .size:           8
        .value_kind:     hidden_global_offset_y
      - .offset:         96
        .size:           8
        .value_kind:     hidden_global_offset_z
      - .offset:         104
        .size:           2
        .value_kind:     hidden_grid_dims
    .group_segment_fixed_size: 8192
    .kernarg_segment_align: 8
    .kernarg_segment_size: 296
    .language:       OpenCL C
    .language_version:
      - 2
      - 0
    .max_flat_workgroup_size: 1024
    .name:           _Z34scaled_masked_softmax_warp_forwardI6__halfS0_fLi3EEvPT0_PKT_PKhT1_iii
    .private_segment_fixed_size: 0
    .sgpr_count:     28
    .sgpr_spill_count: 0
    .symbol:         _Z34scaled_masked_softmax_warp_forwardI6__halfS0_fLi3EEvPT0_PKT_PKhT1_iii.kd
    .uniform_work_group_size: 1
    .uses_dynamic_stack: false
    .vgpr_count:     16
    .vgpr_spill_count: 0
    .wavefront_size: 64
  - .agpr_count:     0
    .args:
      - .address_space:  global
        .offset:         0
        .size:           8
        .value_kind:     global_buffer
      - .address_space:  global
        .offset:         8
        .size:           8
        .value_kind:     global_buffer
      - .address_space:  global
        .offset:         16
        .size:           8
        .value_kind:     global_buffer
      - .offset:         24
        .size:           4
        .value_kind:     by_value
      - .offset:         28
        .size:           4
        .value_kind:     by_value
      - .offset:         32
        .size:           4
        .value_kind:     by_value
      - .offset:         36
        .size:           4
        .value_kind:     by_value
      - .offset:         40
        .size:           4
        .value_kind:     hidden_block_count_x
      - .offset:         44
        .size:           4
        .value_kind:     hidden_block_count_y
      - .offset:         48
        .size:           4
        .value_kind:     hidden_block_count_z
      - .offset:         52
        .size:           2
        .value_kind:     hidden_group_size_x
      - .offset:         54
        .size:           2
        .value_kind:     hidden_group_size_y
      - .offset:         56
        .size:           2
        .value_kind:     hidden_group_size_z
      - .offset:         58
        .size:           2
        .value_kind:     hidden_remainder_x
      - .offset:         60
        .size:           2
        .value_kind:     hidden_remainder_y
      - .offset:         62
        .size:           2
        .value_kind:     hidden_remainder_z
      - .offset:         80
        .size:           8
        .value_kind:     hidden_global_offset_x
      - .offset:         88
        .size:           8
        .value_kind:     hidden_global_offset_y
      - .offset:         96
        .size:           8
        .value_kind:     hidden_global_offset_z
      - .offset:         104
        .size:           2
        .value_kind:     hidden_grid_dims
    .group_segment_fixed_size: 8192
    .kernarg_segment_align: 8
    .kernarg_segment_size: 296
    .language:       OpenCL C
    .language_version:
      - 2
      - 0
    .max_flat_workgroup_size: 1024
    .name:           _Z34scaled_masked_softmax_warp_forwardI6__halfS0_fLi4EEvPT0_PKT_PKhT1_iii
    .private_segment_fixed_size: 0
    .sgpr_count:     28
    .sgpr_spill_count: 0
    .symbol:         _Z34scaled_masked_softmax_warp_forwardI6__halfS0_fLi4EEvPT0_PKT_PKhT1_iii.kd
    .uniform_work_group_size: 1
    .uses_dynamic_stack: false
    .vgpr_count:     16
    .vgpr_spill_count: 0
    .wavefront_size: 64
  - .agpr_count:     0
    .args:
      - .address_space:  global
        .offset:         0
        .size:           8
        .value_kind:     global_buffer
      - .address_space:  global
        .offset:         8
        .size:           8
        .value_kind:     global_buffer
      - .address_space:  global
        .offset:         16
        .size:           8
        .value_kind:     global_buffer
      - .offset:         24
        .size:           4
        .value_kind:     by_value
      - .offset:         28
        .size:           4
        .value_kind:     by_value
      - .offset:         32
        .size:           4
        .value_kind:     by_value
      - .offset:         36
        .size:           4
        .value_kind:     by_value
      - .offset:         40
        .size:           4
        .value_kind:     hidden_block_count_x
      - .offset:         44
        .size:           4
        .value_kind:     hidden_block_count_y
      - .offset:         48
        .size:           4
        .value_kind:     hidden_block_count_z
      - .offset:         52
        .size:           2
        .value_kind:     hidden_group_size_x
      - .offset:         54
        .size:           2
        .value_kind:     hidden_group_size_y
      - .offset:         56
        .size:           2
        .value_kind:     hidden_group_size_z
      - .offset:         58
        .size:           2
        .value_kind:     hidden_remainder_x
      - .offset:         60
        .size:           2
        .value_kind:     hidden_remainder_y
      - .offset:         62
        .size:           2
        .value_kind:     hidden_remainder_z
      - .offset:         80
        .size:           8
        .value_kind:     hidden_global_offset_x
      - .offset:         88
        .size:           8
        .value_kind:     hidden_global_offset_y
      - .offset:         96
        .size:           8
        .value_kind:     hidden_global_offset_z
      - .offset:         104
        .size:           2
        .value_kind:     hidden_grid_dims
    .group_segment_fixed_size: 8192
    .kernarg_segment_align: 8
    .kernarg_segment_size: 296
    .language:       OpenCL C
    .language_version:
      - 2
      - 0
    .max_flat_workgroup_size: 1024
    .name:           _Z34scaled_masked_softmax_warp_forwardI6__halfS0_fLi5EEvPT0_PKT_PKhT1_iii
    .private_segment_fixed_size: 0
    .sgpr_count:     28
    .sgpr_spill_count: 0
    .symbol:         _Z34scaled_masked_softmax_warp_forwardI6__halfS0_fLi5EEvPT0_PKT_PKhT1_iii.kd
    .uniform_work_group_size: 1
    .uses_dynamic_stack: false
    .vgpr_count:     17
    .vgpr_spill_count: 0
    .wavefront_size: 64
  - .agpr_count:     0
    .args:
      - .address_space:  global
        .offset:         0
        .size:           8
        .value_kind:     global_buffer
      - .address_space:  global
        .offset:         8
        .size:           8
        .value_kind:     global_buffer
      - .address_space:  global
        .offset:         16
        .size:           8
        .value_kind:     global_buffer
      - .offset:         24
        .size:           4
        .value_kind:     by_value
      - .offset:         28
        .size:           4
        .value_kind:     by_value
      - .offset:         32
        .size:           4
        .value_kind:     by_value
      - .offset:         36
        .size:           4
        .value_kind:     by_value
      - .offset:         40
        .size:           4
        .value_kind:     hidden_block_count_x
      - .offset:         44
        .size:           4
        .value_kind:     hidden_block_count_y
      - .offset:         48
        .size:           4
        .value_kind:     hidden_block_count_z
      - .offset:         52
        .size:           2
        .value_kind:     hidden_group_size_x
      - .offset:         54
        .size:           2
        .value_kind:     hidden_group_size_y
      - .offset:         56
        .size:           2
        .value_kind:     hidden_group_size_z
      - .offset:         58
        .size:           2
        .value_kind:     hidden_remainder_x
      - .offset:         60
        .size:           2
        .value_kind:     hidden_remainder_y
      - .offset:         62
        .size:           2
        .value_kind:     hidden_remainder_z
      - .offset:         80
        .size:           8
        .value_kind:     hidden_global_offset_x
      - .offset:         88
        .size:           8
        .value_kind:     hidden_global_offset_y
      - .offset:         96
        .size:           8
        .value_kind:     hidden_global_offset_z
      - .offset:         104
        .size:           2
        .value_kind:     hidden_grid_dims
    .group_segment_fixed_size: 16384
    .kernarg_segment_align: 8
    .kernarg_segment_size: 296
    .language:       OpenCL C
    .language_version:
      - 2
      - 0
    .max_flat_workgroup_size: 1024
    .name:           _Z34scaled_masked_softmax_warp_forwardI6__halfS0_fLi6EEvPT0_PKT_PKhT1_iii
    .private_segment_fixed_size: 0
    .sgpr_count:     28
    .sgpr_spill_count: 0
    .symbol:         _Z34scaled_masked_softmax_warp_forwardI6__halfS0_fLi6EEvPT0_PKT_PKhT1_iii.kd
    .uniform_work_group_size: 1
    .uses_dynamic_stack: false
    .vgpr_count:     22
    .vgpr_spill_count: 0
    .wavefront_size: 64
  - .agpr_count:     0
    .args:
      - .address_space:  global
        .offset:         0
        .size:           8
        .value_kind:     global_buffer
      - .address_space:  global
        .offset:         8
        .size:           8
        .value_kind:     global_buffer
      - .address_space:  global
        .offset:         16
        .size:           8
        .value_kind:     global_buffer
      - .offset:         24
        .size:           4
        .value_kind:     by_value
      - .offset:         28
        .size:           4
        .value_kind:     by_value
      - .offset:         32
        .size:           4
        .value_kind:     by_value
      - .offset:         36
        .size:           4
        .value_kind:     by_value
      - .offset:         40
        .size:           4
        .value_kind:     hidden_block_count_x
      - .offset:         44
        .size:           4
        .value_kind:     hidden_block_count_y
      - .offset:         48
        .size:           4
        .value_kind:     hidden_block_count_z
      - .offset:         52
        .size:           2
        .value_kind:     hidden_group_size_x
      - .offset:         54
        .size:           2
        .value_kind:     hidden_group_size_y
      - .offset:         56
        .size:           2
        .value_kind:     hidden_group_size_z
      - .offset:         58
        .size:           2
        .value_kind:     hidden_remainder_x
      - .offset:         60
        .size:           2
        .value_kind:     hidden_remainder_y
      - .offset:         62
        .size:           2
        .value_kind:     hidden_remainder_z
      - .offset:         80
        .size:           8
        .value_kind:     hidden_global_offset_x
      - .offset:         88
        .size:           8
        .value_kind:     hidden_global_offset_y
      - .offset:         96
        .size:           8
        .value_kind:     hidden_global_offset_z
      - .offset:         104
        .size:           2
        .value_kind:     hidden_grid_dims
    .group_segment_fixed_size: 32768
    .kernarg_segment_align: 8
    .kernarg_segment_size: 296
    .language:       OpenCL C
    .language_version:
      - 2
      - 0
    .max_flat_workgroup_size: 1024
    .name:           _Z34scaled_masked_softmax_warp_forwardI6__halfS0_fLi7EEvPT0_PKT_PKhT1_iii
    .private_segment_fixed_size: 0
    .sgpr_count:     28
    .sgpr_spill_count: 0
    .symbol:         _Z34scaled_masked_softmax_warp_forwardI6__halfS0_fLi7EEvPT0_PKT_PKhT1_iii.kd
    .uniform_work_group_size: 1
    .uses_dynamic_stack: false
    .vgpr_count:     24
    .vgpr_spill_count: 0
    .wavefront_size: 64
  - .agpr_count:     0
    .args:
      - .address_space:  global
        .offset:         0
        .size:           8
        .value_kind:     global_buffer
      - .address_space:  global
        .offset:         8
        .size:           8
        .value_kind:     global_buffer
      - .address_space:  global
        .offset:         16
        .size:           8
        .value_kind:     global_buffer
      - .offset:         24
        .size:           4
        .value_kind:     by_value
      - .offset:         28
        .size:           4
        .value_kind:     by_value
      - .offset:         32
        .size:           4
        .value_kind:     by_value
      - .offset:         36
        .size:           4
        .value_kind:     by_value
      - .offset:         40
        .size:           4
        .value_kind:     hidden_block_count_x
      - .offset:         44
        .size:           4
        .value_kind:     hidden_block_count_y
      - .offset:         48
        .size:           4
        .value_kind:     hidden_block_count_z
      - .offset:         52
        .size:           2
        .value_kind:     hidden_group_size_x
      - .offset:         54
        .size:           2
        .value_kind:     hidden_group_size_y
      - .offset:         56
        .size:           2
        .value_kind:     hidden_group_size_z
      - .offset:         58
        .size:           2
        .value_kind:     hidden_remainder_x
      - .offset:         60
        .size:           2
        .value_kind:     hidden_remainder_y
      - .offset:         62
        .size:           2
        .value_kind:     hidden_remainder_z
      - .offset:         80
        .size:           8
        .value_kind:     hidden_global_offset_x
      - .offset:         88
        .size:           8
        .value_kind:     hidden_global_offset_y
      - .offset:         96
        .size:           8
        .value_kind:     hidden_global_offset_z
      - .offset:         104
        .size:           2
        .value_kind:     hidden_grid_dims
    .group_segment_fixed_size: 0
    .kernarg_segment_align: 8
    .kernarg_segment_size: 296
    .language:       OpenCL C
    .language_version:
      - 2
      - 0
    .max_flat_workgroup_size: 1024
    .name:           _Z34scaled_masked_softmax_warp_forwardI6__halfS0_fLi8EEvPT0_PKT_PKhT1_iii
    .private_segment_fixed_size: 0
    .sgpr_count:     24
    .sgpr_spill_count: 0
    .symbol:         _Z34scaled_masked_softmax_warp_forwardI6__halfS0_fLi8EEvPT0_PKT_PKhT1_iii.kd
    .uniform_work_group_size: 1
    .uses_dynamic_stack: false
    .vgpr_count:     23
    .vgpr_spill_count: 0
    .wavefront_size: 64
  - .agpr_count:     0
    .args:
      - .address_space:  global
        .offset:         0
        .size:           8
        .value_kind:     global_buffer
      - .address_space:  global
        .offset:         8
        .size:           8
        .value_kind:     global_buffer
      - .address_space:  global
        .offset:         16
        .size:           8
        .value_kind:     global_buffer
      - .offset:         24
        .size:           4
        .value_kind:     by_value
      - .offset:         28
        .size:           4
        .value_kind:     by_value
      - .offset:         32
        .size:           4
        .value_kind:     by_value
      - .offset:         36
        .size:           4
        .value_kind:     by_value
      - .offset:         40
        .size:           4
        .value_kind:     hidden_block_count_x
      - .offset:         44
        .size:           4
        .value_kind:     hidden_block_count_y
      - .offset:         48
        .size:           4
        .value_kind:     hidden_block_count_z
      - .offset:         52
        .size:           2
        .value_kind:     hidden_group_size_x
      - .offset:         54
        .size:           2
        .value_kind:     hidden_group_size_y
      - .offset:         56
        .size:           2
        .value_kind:     hidden_group_size_z
      - .offset:         58
        .size:           2
        .value_kind:     hidden_remainder_x
      - .offset:         60
        .size:           2
        .value_kind:     hidden_remainder_y
      - .offset:         62
        .size:           2
        .value_kind:     hidden_remainder_z
      - .offset:         80
        .size:           8
        .value_kind:     hidden_global_offset_x
      - .offset:         88
        .size:           8
        .value_kind:     hidden_global_offset_y
      - .offset:         96
        .size:           8
        .value_kind:     hidden_global_offset_z
      - .offset:         104
        .size:           2
        .value_kind:     hidden_grid_dims
    .group_segment_fixed_size: 0
    .kernarg_segment_align: 8
    .kernarg_segment_size: 296
    .language:       OpenCL C
    .language_version:
      - 2
      - 0
    .max_flat_workgroup_size: 1024
    .name:           _Z34scaled_masked_softmax_warp_forwardI6__halfS0_fLi9EEvPT0_PKT_PKhT1_iii
    .private_segment_fixed_size: 0
    .sgpr_count:     24
    .sgpr_spill_count: 0
    .symbol:         _Z34scaled_masked_softmax_warp_forwardI6__halfS0_fLi9EEvPT0_PKT_PKhT1_iii.kd
    .uniform_work_group_size: 1
    .uses_dynamic_stack: false
    .vgpr_count:     33
    .vgpr_spill_count: 0
    .wavefront_size: 64
  - .agpr_count:     0
    .args:
      - .address_space:  global
        .offset:         0
        .size:           8
        .value_kind:     global_buffer
      - .address_space:  global
        .offset:         8
        .size:           8
        .value_kind:     global_buffer
      - .address_space:  global
        .offset:         16
        .size:           8
        .value_kind:     global_buffer
      - .offset:         24
        .size:           4
        .value_kind:     by_value
      - .offset:         28
        .size:           4
        .value_kind:     by_value
      - .offset:         32
        .size:           4
        .value_kind:     by_value
      - .offset:         36
        .size:           4
        .value_kind:     by_value
      - .offset:         40
        .size:           4
        .value_kind:     hidden_block_count_x
      - .offset:         44
        .size:           4
        .value_kind:     hidden_block_count_y
      - .offset:         48
        .size:           4
        .value_kind:     hidden_block_count_z
      - .offset:         52
        .size:           2
        .value_kind:     hidden_group_size_x
      - .offset:         54
        .size:           2
        .value_kind:     hidden_group_size_y
      - .offset:         56
        .size:           2
        .value_kind:     hidden_group_size_z
      - .offset:         58
        .size:           2
        .value_kind:     hidden_remainder_x
      - .offset:         60
        .size:           2
        .value_kind:     hidden_remainder_y
      - .offset:         62
        .size:           2
        .value_kind:     hidden_remainder_z
      - .offset:         80
        .size:           8
        .value_kind:     hidden_global_offset_x
      - .offset:         88
        .size:           8
        .value_kind:     hidden_global_offset_y
      - .offset:         96
        .size:           8
        .value_kind:     hidden_global_offset_z
      - .offset:         104
        .size:           2
        .value_kind:     hidden_grid_dims
    .group_segment_fixed_size: 0
    .kernarg_segment_align: 8
    .kernarg_segment_size: 296
    .language:       OpenCL C
    .language_version:
      - 2
      - 0
    .max_flat_workgroup_size: 1024
    .name:           _Z34scaled_masked_softmax_warp_forwardI6__halfS0_fLi10EEvPT0_PKT_PKhT1_iii
    .private_segment_fixed_size: 0
    .sgpr_count:     24
    .sgpr_spill_count: 0
    .symbol:         _Z34scaled_masked_softmax_warp_forwardI6__halfS0_fLi10EEvPT0_PKT_PKhT1_iii.kd
    .uniform_work_group_size: 1
    .uses_dynamic_stack: false
    .vgpr_count:     56
    .vgpr_spill_count: 0
    .wavefront_size: 64
  - .agpr_count:     0
    .args:
      - .address_space:  global
        .offset:         0
        .size:           8
        .value_kind:     global_buffer
      - .address_space:  global
        .offset:         8
        .size:           8
        .value_kind:     global_buffer
      - .address_space:  global
        .offset:         16
        .size:           8
        .value_kind:     global_buffer
      - .offset:         24
        .size:           4
        .value_kind:     by_value
      - .offset:         28
        .size:           4
        .value_kind:     by_value
      - .offset:         32
        .size:           4
        .value_kind:     by_value
      - .offset:         36
        .size:           4
        .value_kind:     by_value
      - .offset:         40
        .size:           4
        .value_kind:     hidden_block_count_x
      - .offset:         44
        .size:           4
        .value_kind:     hidden_block_count_y
      - .offset:         48
        .size:           4
        .value_kind:     hidden_block_count_z
      - .offset:         52
        .size:           2
        .value_kind:     hidden_group_size_x
      - .offset:         54
        .size:           2
        .value_kind:     hidden_group_size_y
      - .offset:         56
        .size:           2
        .value_kind:     hidden_group_size_z
      - .offset:         58
        .size:           2
        .value_kind:     hidden_remainder_x
      - .offset:         60
        .size:           2
        .value_kind:     hidden_remainder_y
      - .offset:         62
        .size:           2
        .value_kind:     hidden_remainder_z
      - .offset:         80
        .size:           8
        .value_kind:     hidden_global_offset_x
      - .offset:         88
        .size:           8
        .value_kind:     hidden_global_offset_y
      - .offset:         96
        .size:           8
        .value_kind:     hidden_global_offset_z
      - .offset:         104
        .size:           2
        .value_kind:     hidden_grid_dims
    .group_segment_fixed_size: 8192
    .kernarg_segment_align: 8
    .kernarg_segment_size: 296
    .language:       OpenCL C
    .language_version:
      - 2
      - 0
    .max_flat_workgroup_size: 1024
    .name:           _Z34scaled_masked_softmax_warp_forwardI14__hip_bfloat16S0_fLi0EEvPT0_PKT_PKhT1_iii
    .private_segment_fixed_size: 0
    .sgpr_count:     28
    .sgpr_spill_count: 0
    .symbol:         _Z34scaled_masked_softmax_warp_forwardI14__hip_bfloat16S0_fLi0EEvPT0_PKT_PKhT1_iii.kd
    .uniform_work_group_size: 1
    .uses_dynamic_stack: false
    .vgpr_count:     17
    .vgpr_spill_count: 0
    .wavefront_size: 64
  - .agpr_count:     0
    .args:
      - .address_space:  global
        .offset:         0
        .size:           8
        .value_kind:     global_buffer
      - .address_space:  global
        .offset:         8
        .size:           8
        .value_kind:     global_buffer
      - .address_space:  global
        .offset:         16
        .size:           8
        .value_kind:     global_buffer
      - .offset:         24
        .size:           4
        .value_kind:     by_value
      - .offset:         28
        .size:           4
        .value_kind:     by_value
      - .offset:         32
        .size:           4
        .value_kind:     by_value
      - .offset:         36
        .size:           4
        .value_kind:     by_value
      - .offset:         40
        .size:           4
        .value_kind:     hidden_block_count_x
      - .offset:         44
        .size:           4
        .value_kind:     hidden_block_count_y
      - .offset:         48
        .size:           4
        .value_kind:     hidden_block_count_z
      - .offset:         52
        .size:           2
        .value_kind:     hidden_group_size_x
      - .offset:         54
        .size:           2
        .value_kind:     hidden_group_size_y
      - .offset:         56
        .size:           2
        .value_kind:     hidden_group_size_z
      - .offset:         58
        .size:           2
        .value_kind:     hidden_remainder_x
      - .offset:         60
        .size:           2
        .value_kind:     hidden_remainder_y
      - .offset:         62
        .size:           2
        .value_kind:     hidden_remainder_z
      - .offset:         80
        .size:           8
        .value_kind:     hidden_global_offset_x
      - .offset:         88
        .size:           8
        .value_kind:     hidden_global_offset_y
      - .offset:         96
        .size:           8
        .value_kind:     hidden_global_offset_z
      - .offset:         104
        .size:           2
        .value_kind:     hidden_grid_dims
    .group_segment_fixed_size: 8192
    .kernarg_segment_align: 8
    .kernarg_segment_size: 296
    .language:       OpenCL C
    .language_version:
      - 2
      - 0
    .max_flat_workgroup_size: 1024
    .name:           _Z34scaled_masked_softmax_warp_forwardI14__hip_bfloat16S0_fLi1EEvPT0_PKT_PKhT1_iii
    .private_segment_fixed_size: 0
    .sgpr_count:     28
    .sgpr_spill_count: 0
    .symbol:         _Z34scaled_masked_softmax_warp_forwardI14__hip_bfloat16S0_fLi1EEvPT0_PKT_PKhT1_iii.kd
    .uniform_work_group_size: 1
    .uses_dynamic_stack: false
    .vgpr_count:     17
    .vgpr_spill_count: 0
    .wavefront_size: 64
  - .agpr_count:     0
    .args:
      - .address_space:  global
        .offset:         0
        .size:           8
        .value_kind:     global_buffer
      - .address_space:  global
        .offset:         8
        .size:           8
        .value_kind:     global_buffer
      - .address_space:  global
        .offset:         16
        .size:           8
        .value_kind:     global_buffer
      - .offset:         24
        .size:           4
        .value_kind:     by_value
      - .offset:         28
        .size:           4
        .value_kind:     by_value
      - .offset:         32
        .size:           4
        .value_kind:     by_value
      - .offset:         36
        .size:           4
        .value_kind:     by_value
      - .offset:         40
        .size:           4
        .value_kind:     hidden_block_count_x
      - .offset:         44
        .size:           4
        .value_kind:     hidden_block_count_y
      - .offset:         48
        .size:           4
        .value_kind:     hidden_block_count_z
      - .offset:         52
        .size:           2
        .value_kind:     hidden_group_size_x
      - .offset:         54
        .size:           2
        .value_kind:     hidden_group_size_y
      - .offset:         56
        .size:           2
        .value_kind:     hidden_group_size_z
      - .offset:         58
        .size:           2
        .value_kind:     hidden_remainder_x
      - .offset:         60
        .size:           2
        .value_kind:     hidden_remainder_y
      - .offset:         62
        .size:           2
        .value_kind:     hidden_remainder_z
      - .offset:         80
        .size:           8
        .value_kind:     hidden_global_offset_x
      - .offset:         88
        .size:           8
        .value_kind:     hidden_global_offset_y
      - .offset:         96
        .size:           8
        .value_kind:     hidden_global_offset_z
      - .offset:         104
        .size:           2
        .value_kind:     hidden_grid_dims
    .group_segment_fixed_size: 8192
    .kernarg_segment_align: 8
    .kernarg_segment_size: 296
    .language:       OpenCL C
    .language_version:
      - 2
      - 0
    .max_flat_workgroup_size: 1024
    .name:           _Z34scaled_masked_softmax_warp_forwardI14__hip_bfloat16S0_fLi2EEvPT0_PKT_PKhT1_iii
    .private_segment_fixed_size: 0
    .sgpr_count:     28
    .sgpr_spill_count: 0
    .symbol:         _Z34scaled_masked_softmax_warp_forwardI14__hip_bfloat16S0_fLi2EEvPT0_PKT_PKhT1_iii.kd
    .uniform_work_group_size: 1
    .uses_dynamic_stack: false
    .vgpr_count:     16
    .vgpr_spill_count: 0
    .wavefront_size: 64
  - .agpr_count:     0
    .args:
      - .address_space:  global
        .offset:         0
        .size:           8
        .value_kind:     global_buffer
      - .address_space:  global
        .offset:         8
        .size:           8
        .value_kind:     global_buffer
      - .address_space:  global
        .offset:         16
        .size:           8
        .value_kind:     global_buffer
      - .offset:         24
        .size:           4
        .value_kind:     by_value
      - .offset:         28
        .size:           4
        .value_kind:     by_value
      - .offset:         32
        .size:           4
        .value_kind:     by_value
      - .offset:         36
        .size:           4
        .value_kind:     by_value
      - .offset:         40
        .size:           4
        .value_kind:     hidden_block_count_x
      - .offset:         44
        .size:           4
        .value_kind:     hidden_block_count_y
      - .offset:         48
        .size:           4
        .value_kind:     hidden_block_count_z
      - .offset:         52
        .size:           2
        .value_kind:     hidden_group_size_x
      - .offset:         54
        .size:           2
        .value_kind:     hidden_group_size_y
      - .offset:         56
        .size:           2
        .value_kind:     hidden_group_size_z
      - .offset:         58
        .size:           2
        .value_kind:     hidden_remainder_x
      - .offset:         60
        .size:           2
        .value_kind:     hidden_remainder_y
      - .offset:         62
        .size:           2
        .value_kind:     hidden_remainder_z
      - .offset:         80
        .size:           8
        .value_kind:     hidden_global_offset_x
      - .offset:         88
        .size:           8
        .value_kind:     hidden_global_offset_y
      - .offset:         96
        .size:           8
        .value_kind:     hidden_global_offset_z
      - .offset:         104
        .size:           2
        .value_kind:     hidden_grid_dims
    .group_segment_fixed_size: 8192
    .kernarg_segment_align: 8
    .kernarg_segment_size: 296
    .language:       OpenCL C
    .language_version:
      - 2
      - 0
    .max_flat_workgroup_size: 1024
    .name:           _Z34scaled_masked_softmax_warp_forwardI14__hip_bfloat16S0_fLi3EEvPT0_PKT_PKhT1_iii
    .private_segment_fixed_size: 0
    .sgpr_count:     28
    .sgpr_spill_count: 0
    .symbol:         _Z34scaled_masked_softmax_warp_forwardI14__hip_bfloat16S0_fLi3EEvPT0_PKT_PKhT1_iii.kd
    .uniform_work_group_size: 1
    .uses_dynamic_stack: false
    .vgpr_count:     16
    .vgpr_spill_count: 0
    .wavefront_size: 64
  - .agpr_count:     0
    .args:
      - .address_space:  global
        .offset:         0
        .size:           8
        .value_kind:     global_buffer
      - .address_space:  global
        .offset:         8
        .size:           8
        .value_kind:     global_buffer
      - .address_space:  global
        .offset:         16
        .size:           8
        .value_kind:     global_buffer
      - .offset:         24
        .size:           4
        .value_kind:     by_value
      - .offset:         28
        .size:           4
        .value_kind:     by_value
      - .offset:         32
        .size:           4
        .value_kind:     by_value
      - .offset:         36
        .size:           4
        .value_kind:     by_value
      - .offset:         40
        .size:           4
        .value_kind:     hidden_block_count_x
      - .offset:         44
        .size:           4
        .value_kind:     hidden_block_count_y
      - .offset:         48
        .size:           4
        .value_kind:     hidden_block_count_z
      - .offset:         52
        .size:           2
        .value_kind:     hidden_group_size_x
      - .offset:         54
        .size:           2
        .value_kind:     hidden_group_size_y
      - .offset:         56
        .size:           2
        .value_kind:     hidden_group_size_z
      - .offset:         58
        .size:           2
        .value_kind:     hidden_remainder_x
      - .offset:         60
        .size:           2
        .value_kind:     hidden_remainder_y
      - .offset:         62
        .size:           2
        .value_kind:     hidden_remainder_z
      - .offset:         80
        .size:           8
        .value_kind:     hidden_global_offset_x
      - .offset:         88
        .size:           8
        .value_kind:     hidden_global_offset_y
      - .offset:         96
        .size:           8
        .value_kind:     hidden_global_offset_z
      - .offset:         104
        .size:           2
        .value_kind:     hidden_grid_dims
    .group_segment_fixed_size: 8192
    .kernarg_segment_align: 8
    .kernarg_segment_size: 296
    .language:       OpenCL C
    .language_version:
      - 2
      - 0
    .max_flat_workgroup_size: 1024
    .name:           _Z34scaled_masked_softmax_warp_forwardI14__hip_bfloat16S0_fLi4EEvPT0_PKT_PKhT1_iii
    .private_segment_fixed_size: 0
    .sgpr_count:     28
    .sgpr_spill_count: 0
    .symbol:         _Z34scaled_masked_softmax_warp_forwardI14__hip_bfloat16S0_fLi4EEvPT0_PKT_PKhT1_iii.kd
    .uniform_work_group_size: 1
    .uses_dynamic_stack: false
    .vgpr_count:     16
    .vgpr_spill_count: 0
    .wavefront_size: 64
  - .agpr_count:     0
    .args:
      - .address_space:  global
        .offset:         0
        .size:           8
        .value_kind:     global_buffer
      - .address_space:  global
        .offset:         8
        .size:           8
        .value_kind:     global_buffer
      - .address_space:  global
        .offset:         16
        .size:           8
        .value_kind:     global_buffer
      - .offset:         24
        .size:           4
        .value_kind:     by_value
      - .offset:         28
        .size:           4
        .value_kind:     by_value
      - .offset:         32
        .size:           4
        .value_kind:     by_value
      - .offset:         36
        .size:           4
        .value_kind:     by_value
      - .offset:         40
        .size:           4
        .value_kind:     hidden_block_count_x
      - .offset:         44
        .size:           4
        .value_kind:     hidden_block_count_y
      - .offset:         48
        .size:           4
        .value_kind:     hidden_block_count_z
      - .offset:         52
        .size:           2
        .value_kind:     hidden_group_size_x
      - .offset:         54
        .size:           2
        .value_kind:     hidden_group_size_y
      - .offset:         56
        .size:           2
        .value_kind:     hidden_group_size_z
      - .offset:         58
        .size:           2
        .value_kind:     hidden_remainder_x
      - .offset:         60
        .size:           2
        .value_kind:     hidden_remainder_y
      - .offset:         62
        .size:           2
        .value_kind:     hidden_remainder_z
      - .offset:         80
        .size:           8
        .value_kind:     hidden_global_offset_x
      - .offset:         88
        .size:           8
        .value_kind:     hidden_global_offset_y
      - .offset:         96
        .size:           8
        .value_kind:     hidden_global_offset_z
      - .offset:         104
        .size:           2
        .value_kind:     hidden_grid_dims
    .group_segment_fixed_size: 8192
    .kernarg_segment_align: 8
    .kernarg_segment_size: 296
    .language:       OpenCL C
    .language_version:
      - 2
      - 0
    .max_flat_workgroup_size: 1024
    .name:           _Z34scaled_masked_softmax_warp_forwardI14__hip_bfloat16S0_fLi5EEvPT0_PKT_PKhT1_iii
    .private_segment_fixed_size: 0
    .sgpr_count:     28
    .sgpr_spill_count: 0
    .symbol:         _Z34scaled_masked_softmax_warp_forwardI14__hip_bfloat16S0_fLi5EEvPT0_PKT_PKhT1_iii.kd
    .uniform_work_group_size: 1
    .uses_dynamic_stack: false
    .vgpr_count:     17
    .vgpr_spill_count: 0
    .wavefront_size: 64
  - .agpr_count:     0
    .args:
      - .address_space:  global
        .offset:         0
        .size:           8
        .value_kind:     global_buffer
      - .address_space:  global
        .offset:         8
        .size:           8
        .value_kind:     global_buffer
      - .address_space:  global
        .offset:         16
        .size:           8
        .value_kind:     global_buffer
      - .offset:         24
        .size:           4
        .value_kind:     by_value
      - .offset:         28
        .size:           4
        .value_kind:     by_value
      - .offset:         32
        .size:           4
        .value_kind:     by_value
      - .offset:         36
        .size:           4
        .value_kind:     by_value
      - .offset:         40
        .size:           4
        .value_kind:     hidden_block_count_x
      - .offset:         44
        .size:           4
        .value_kind:     hidden_block_count_y
      - .offset:         48
        .size:           4
        .value_kind:     hidden_block_count_z
      - .offset:         52
        .size:           2
        .value_kind:     hidden_group_size_x
      - .offset:         54
        .size:           2
        .value_kind:     hidden_group_size_y
      - .offset:         56
        .size:           2
        .value_kind:     hidden_group_size_z
      - .offset:         58
        .size:           2
        .value_kind:     hidden_remainder_x
      - .offset:         60
        .size:           2
        .value_kind:     hidden_remainder_y
      - .offset:         62
        .size:           2
        .value_kind:     hidden_remainder_z
      - .offset:         80
        .size:           8
        .value_kind:     hidden_global_offset_x
      - .offset:         88
        .size:           8
        .value_kind:     hidden_global_offset_y
      - .offset:         96
        .size:           8
        .value_kind:     hidden_global_offset_z
      - .offset:         104
        .size:           2
        .value_kind:     hidden_grid_dims
    .group_segment_fixed_size: 16384
    .kernarg_segment_align: 8
    .kernarg_segment_size: 296
    .language:       OpenCL C
    .language_version:
      - 2
      - 0
    .max_flat_workgroup_size: 1024
    .name:           _Z34scaled_masked_softmax_warp_forwardI14__hip_bfloat16S0_fLi6EEvPT0_PKT_PKhT1_iii
    .private_segment_fixed_size: 0
    .sgpr_count:     28
    .sgpr_spill_count: 0
    .symbol:         _Z34scaled_masked_softmax_warp_forwardI14__hip_bfloat16S0_fLi6EEvPT0_PKT_PKhT1_iii.kd
    .uniform_work_group_size: 1
    .uses_dynamic_stack: false
    .vgpr_count:     22
    .vgpr_spill_count: 0
    .wavefront_size: 64
  - .agpr_count:     0
    .args:
      - .address_space:  global
        .offset:         0
        .size:           8
        .value_kind:     global_buffer
      - .address_space:  global
        .offset:         8
        .size:           8
        .value_kind:     global_buffer
      - .address_space:  global
        .offset:         16
        .size:           8
        .value_kind:     global_buffer
      - .offset:         24
        .size:           4
        .value_kind:     by_value
      - .offset:         28
        .size:           4
        .value_kind:     by_value
      - .offset:         32
        .size:           4
        .value_kind:     by_value
      - .offset:         36
        .size:           4
        .value_kind:     by_value
      - .offset:         40
        .size:           4
        .value_kind:     hidden_block_count_x
      - .offset:         44
        .size:           4
        .value_kind:     hidden_block_count_y
      - .offset:         48
        .size:           4
        .value_kind:     hidden_block_count_z
      - .offset:         52
        .size:           2
        .value_kind:     hidden_group_size_x
      - .offset:         54
        .size:           2
        .value_kind:     hidden_group_size_y
      - .offset:         56
        .size:           2
        .value_kind:     hidden_group_size_z
      - .offset:         58
        .size:           2
        .value_kind:     hidden_remainder_x
      - .offset:         60
        .size:           2
        .value_kind:     hidden_remainder_y
      - .offset:         62
        .size:           2
        .value_kind:     hidden_remainder_z
      - .offset:         80
        .size:           8
        .value_kind:     hidden_global_offset_x
      - .offset:         88
        .size:           8
        .value_kind:     hidden_global_offset_y
      - .offset:         96
        .size:           8
        .value_kind:     hidden_global_offset_z
      - .offset:         104
        .size:           2
        .value_kind:     hidden_grid_dims
    .group_segment_fixed_size: 32768
    .kernarg_segment_align: 8
    .kernarg_segment_size: 296
    .language:       OpenCL C
    .language_version:
      - 2
      - 0
    .max_flat_workgroup_size: 1024
    .name:           _Z34scaled_masked_softmax_warp_forwardI14__hip_bfloat16S0_fLi7EEvPT0_PKT_PKhT1_iii
    .private_segment_fixed_size: 0
    .sgpr_count:     28
    .sgpr_spill_count: 0
    .symbol:         _Z34scaled_masked_softmax_warp_forwardI14__hip_bfloat16S0_fLi7EEvPT0_PKT_PKhT1_iii.kd
    .uniform_work_group_size: 1
    .uses_dynamic_stack: false
    .vgpr_count:     24
    .vgpr_spill_count: 0
    .wavefront_size: 64
  - .agpr_count:     0
    .args:
      - .address_space:  global
        .offset:         0
        .size:           8
        .value_kind:     global_buffer
      - .address_space:  global
        .offset:         8
        .size:           8
        .value_kind:     global_buffer
      - .address_space:  global
        .offset:         16
        .size:           8
        .value_kind:     global_buffer
      - .offset:         24
        .size:           4
        .value_kind:     by_value
      - .offset:         28
        .size:           4
        .value_kind:     by_value
      - .offset:         32
        .size:           4
        .value_kind:     by_value
      - .offset:         36
        .size:           4
        .value_kind:     by_value
      - .offset:         40
        .size:           4
        .value_kind:     hidden_block_count_x
      - .offset:         44
        .size:           4
        .value_kind:     hidden_block_count_y
      - .offset:         48
        .size:           4
        .value_kind:     hidden_block_count_z
      - .offset:         52
        .size:           2
        .value_kind:     hidden_group_size_x
      - .offset:         54
        .size:           2
        .value_kind:     hidden_group_size_y
      - .offset:         56
        .size:           2
        .value_kind:     hidden_group_size_z
      - .offset:         58
        .size:           2
        .value_kind:     hidden_remainder_x
      - .offset:         60
        .size:           2
        .value_kind:     hidden_remainder_y
      - .offset:         62
        .size:           2
        .value_kind:     hidden_remainder_z
      - .offset:         80
        .size:           8
        .value_kind:     hidden_global_offset_x
      - .offset:         88
        .size:           8
        .value_kind:     hidden_global_offset_y
      - .offset:         96
        .size:           8
        .value_kind:     hidden_global_offset_z
      - .offset:         104
        .size:           2
        .value_kind:     hidden_grid_dims
    .group_segment_fixed_size: 0
    .kernarg_segment_align: 8
    .kernarg_segment_size: 296
    .language:       OpenCL C
    .language_version:
      - 2
      - 0
    .max_flat_workgroup_size: 1024
    .name:           _Z34scaled_masked_softmax_warp_forwardI14__hip_bfloat16S0_fLi8EEvPT0_PKT_PKhT1_iii
    .private_segment_fixed_size: 0
    .sgpr_count:     24
    .sgpr_spill_count: 0
    .symbol:         _Z34scaled_masked_softmax_warp_forwardI14__hip_bfloat16S0_fLi8EEvPT0_PKT_PKhT1_iii.kd
    .uniform_work_group_size: 1
    .uses_dynamic_stack: false
    .vgpr_count:     23
    .vgpr_spill_count: 0
    .wavefront_size: 64
  - .agpr_count:     0
    .args:
      - .address_space:  global
        .offset:         0
        .size:           8
        .value_kind:     global_buffer
      - .address_space:  global
        .offset:         8
        .size:           8
        .value_kind:     global_buffer
      - .address_space:  global
        .offset:         16
        .size:           8
        .value_kind:     global_buffer
      - .offset:         24
        .size:           4
        .value_kind:     by_value
      - .offset:         28
        .size:           4
        .value_kind:     by_value
      - .offset:         32
        .size:           4
        .value_kind:     by_value
      - .offset:         36
        .size:           4
        .value_kind:     by_value
      - .offset:         40
        .size:           4
        .value_kind:     hidden_block_count_x
      - .offset:         44
        .size:           4
        .value_kind:     hidden_block_count_y
      - .offset:         48
        .size:           4
        .value_kind:     hidden_block_count_z
      - .offset:         52
        .size:           2
        .value_kind:     hidden_group_size_x
      - .offset:         54
        .size:           2
        .value_kind:     hidden_group_size_y
      - .offset:         56
        .size:           2
        .value_kind:     hidden_group_size_z
      - .offset:         58
        .size:           2
        .value_kind:     hidden_remainder_x
      - .offset:         60
        .size:           2
        .value_kind:     hidden_remainder_y
      - .offset:         62
        .size:           2
        .value_kind:     hidden_remainder_z
      - .offset:         80
        .size:           8
        .value_kind:     hidden_global_offset_x
      - .offset:         88
        .size:           8
        .value_kind:     hidden_global_offset_y
      - .offset:         96
        .size:           8
        .value_kind:     hidden_global_offset_z
      - .offset:         104
        .size:           2
        .value_kind:     hidden_grid_dims
    .group_segment_fixed_size: 0
    .kernarg_segment_align: 8
    .kernarg_segment_size: 296
    .language:       OpenCL C
    .language_version:
      - 2
      - 0
    .max_flat_workgroup_size: 1024
    .name:           _Z34scaled_masked_softmax_warp_forwardI14__hip_bfloat16S0_fLi9EEvPT0_PKT_PKhT1_iii
    .private_segment_fixed_size: 0
    .sgpr_count:     24
    .sgpr_spill_count: 0
    .symbol:         _Z34scaled_masked_softmax_warp_forwardI14__hip_bfloat16S0_fLi9EEvPT0_PKT_PKhT1_iii.kd
    .uniform_work_group_size: 1
    .uses_dynamic_stack: false
    .vgpr_count:     31
    .vgpr_spill_count: 0
    .wavefront_size: 64
  - .agpr_count:     0
    .args:
      - .address_space:  global
        .offset:         0
        .size:           8
        .value_kind:     global_buffer
      - .address_space:  global
        .offset:         8
        .size:           8
        .value_kind:     global_buffer
      - .address_space:  global
        .offset:         16
        .size:           8
        .value_kind:     global_buffer
      - .offset:         24
        .size:           4
        .value_kind:     by_value
      - .offset:         28
        .size:           4
        .value_kind:     by_value
      - .offset:         32
        .size:           4
        .value_kind:     by_value
      - .offset:         36
        .size:           4
        .value_kind:     by_value
      - .offset:         40
        .size:           4
        .value_kind:     hidden_block_count_x
      - .offset:         44
        .size:           4
        .value_kind:     hidden_block_count_y
      - .offset:         48
        .size:           4
        .value_kind:     hidden_block_count_z
      - .offset:         52
        .size:           2
        .value_kind:     hidden_group_size_x
      - .offset:         54
        .size:           2
        .value_kind:     hidden_group_size_y
      - .offset:         56
        .size:           2
        .value_kind:     hidden_group_size_z
      - .offset:         58
        .size:           2
        .value_kind:     hidden_remainder_x
      - .offset:         60
        .size:           2
        .value_kind:     hidden_remainder_y
      - .offset:         62
        .size:           2
        .value_kind:     hidden_remainder_z
      - .offset:         80
        .size:           8
        .value_kind:     hidden_global_offset_x
      - .offset:         88
        .size:           8
        .value_kind:     hidden_global_offset_y
      - .offset:         96
        .size:           8
        .value_kind:     hidden_global_offset_z
      - .offset:         104
        .size:           2
        .value_kind:     hidden_grid_dims
    .group_segment_fixed_size: 0
    .kernarg_segment_align: 8
    .kernarg_segment_size: 296
    .language:       OpenCL C
    .language_version:
      - 2
      - 0
    .max_flat_workgroup_size: 1024
    .name:           _Z34scaled_masked_softmax_warp_forwardI14__hip_bfloat16S0_fLi10EEvPT0_PKT_PKhT1_iii
    .private_segment_fixed_size: 0
    .sgpr_count:     24
    .sgpr_spill_count: 0
    .symbol:         _Z34scaled_masked_softmax_warp_forwardI14__hip_bfloat16S0_fLi10EEvPT0_PKT_PKhT1_iii.kd
    .uniform_work_group_size: 1
    .uses_dynamic_stack: false
    .vgpr_count:     48
    .vgpr_spill_count: 0
    .wavefront_size: 64
amdhsa.target:   amdgcn-amd-amdhsa--gfx90a
amdhsa.version:
  - 1
  - 2
...

	.end_amdgpu_metadata
